;; amdgpu-corpus repo=ROCm/rocFFT kind=compiled arch=gfx906 opt=O3
	.text
	.amdgcn_target "amdgcn-amd-amdhsa--gfx906"
	.amdhsa_code_object_version 6
	.protected	bluestein_single_back_len663_dim1_dp_op_CI_CI ; -- Begin function bluestein_single_back_len663_dim1_dp_op_CI_CI
	.globl	bluestein_single_back_len663_dim1_dp_op_CI_CI
	.p2align	8
	.type	bluestein_single_back_len663_dim1_dp_op_CI_CI,@function
bluestein_single_back_len663_dim1_dp_op_CI_CI: ; @bluestein_single_back_len663_dim1_dp_op_CI_CI
; %bb.0:
	s_mov_b64 s[66:67], s[2:3]
	s_mov_b64 s[64:65], s[0:1]
	s_load_dwordx4 s[0:3], s[4:5], 0x28
	v_mul_u32_u24_e32 v1, 0x506, v0
	v_add_u32_sdwa v197, s6, v1 dst_sel:DWORD dst_unused:UNUSED_PAD src0_sel:DWORD src1_sel:WORD_1
	v_mov_b32_e32 v198, 0
	s_add_u32 s64, s64, s7
	s_waitcnt lgkmcnt(0)
	v_cmp_gt_u64_e32 vcc, s[0:1], v[197:198]
	s_addc_u32 s65, s65, 0
	s_and_saveexec_b64 s[0:1], vcc
	s_cbranch_execz .LBB0_23
; %bb.1:
	s_load_dwordx2 s[12:13], s[4:5], 0x0
	s_load_dwordx2 s[14:15], s[4:5], 0x38
	v_mov_b32_e32 v2, 51
	v_mul_lo_u16_sdwa v1, v1, v2 dst_sel:DWORD dst_unused:UNUSED_PAD src0_sel:WORD_1 src1_sel:DWORD
	v_sub_u16_e32 v198, v0, v1
	v_cmp_gt_u16_e64 s[0:1], 39, v198
	v_lshlrev_b32_e32 v255, 4, v198
	s_and_saveexec_b64 s[6:7], s[0:1]
	s_cbranch_execz .LBB0_3
; %bb.2:
	s_load_dwordx2 s[8:9], s[4:5], 0x18
	s_waitcnt lgkmcnt(0)
	v_mov_b32_e32 v54, s13
	s_load_dwordx4 s[8:11], s[8:9], 0x0
	s_waitcnt lgkmcnt(0)
	v_mad_u64_u32 v[0:1], s[16:17], s10, v197, 0
	v_mad_u64_u32 v[2:3], s[16:17], s8, v198, 0
	;; [unrolled: 1-line block ×4, first 2 shown]
	v_mov_b32_e32 v1, v4
	v_lshlrev_b64 v[0:1], 4, v[0:1]
	v_mov_b32_e32 v3, v5
	v_mov_b32_e32 v6, s3
	v_lshlrev_b64 v[2:3], 4, v[2:3]
	v_add_co_u32_e32 v0, vcc, s2, v0
	v_addc_co_u32_e32 v1, vcc, v6, v1, vcc
	v_add_co_u32_e32 v16, vcc, v0, v2
	s_mul_i32 s2, s9, 0x270
	s_mul_hi_u32 s3, s8, 0x270
	v_addc_co_u32_e32 v17, vcc, v1, v3, vcc
	s_add_i32 s2, s3, s2
	s_mul_i32 s3, s8, 0x270
	v_mov_b32_e32 v0, s2
	v_add_co_u32_e32 v18, vcc, s3, v16
	v_addc_co_u32_e32 v19, vcc, v17, v0, vcc
	global_load_dwordx4 v[0:3], v[16:17], off
	global_load_dwordx4 v[4:7], v[18:19], off
	global_load_dwordx4 v[8:11], v255, s[12:13]
	global_load_dwordx4 v[12:15], v255, s[12:13] offset:624
	v_mov_b32_e32 v16, s2
	v_add_co_u32_e32 v32, vcc, s3, v18
	v_addc_co_u32_e32 v33, vcc, v19, v16, vcc
	v_add_co_u32_e32 v34, vcc, s3, v32
	v_addc_co_u32_e32 v35, vcc, v33, v16, vcc
	global_load_dwordx4 v[16:19], v[32:33], off
	global_load_dwordx4 v[20:23], v[34:35], off
	global_load_dwordx4 v[24:27], v255, s[12:13] offset:1248
	global_load_dwordx4 v[28:31], v255, s[12:13] offset:1872
	v_mov_b32_e32 v32, s2
	v_add_co_u32_e32 v36, vcc, s3, v34
	v_addc_co_u32_e32 v37, vcc, v35, v32, vcc
	v_mov_b32_e32 v38, s2
	v_add_co_u32_e32 v52, vcc, s3, v36
	v_addc_co_u32_e32 v53, vcc, v37, v38, vcc
	v_add_co_u32_e32 v118, vcc, s12, v255
	s_movk_i32 s8, 0x1000
	v_addc_co_u32_e32 v119, vcc, 0, v54, vcc
	v_add_co_u32_e32 v112, vcc, s8, v118
	v_addc_co_u32_e32 v113, vcc, 0, v119, vcc
	global_load_dwordx4 v[32:35], v[36:37], off
	v_mov_b32_e32 v54, s2
	v_add_co_u32_e32 v56, vcc, s3, v52
	v_addc_co_u32_e32 v57, vcc, v53, v54, vcc
	global_load_dwordx4 v[36:39], v255, s[12:13] offset:2496
	global_load_dwordx4 v[40:43], v255, s[12:13] offset:3120
	global_load_dwordx4 v[44:47], v[52:53], off
	v_mov_b32_e32 v58, s2
	v_add_co_u32_e32 v60, vcc, s3, v56
	v_addc_co_u32_e32 v61, vcc, v57, v58, vcc
	v_mov_b32_e32 v62, s2
	v_add_co_u32_e32 v72, vcc, s3, v60
	v_addc_co_u32_e32 v73, vcc, v61, v62, vcc
	global_load_dwordx4 v[48:51], v255, s[12:13] offset:3744
	global_load_dwordx4 v[52:55], v[56:57], off
	v_mov_b32_e32 v74, s2
	v_add_co_u32_e32 v76, vcc, s3, v72
	global_load_dwordx4 v[56:59], v[60:61], off
	v_addc_co_u32_e32 v77, vcc, v73, v74, vcc
	global_load_dwordx4 v[60:63], v[72:73], off
	global_load_dwordx4 v[64:67], v[112:113], off offset:272
	global_load_dwordx4 v[68:71], v[112:113], off offset:896
	v_mov_b32_e32 v78, s2
	v_add_co_u32_e32 v88, vcc, s3, v76
	v_addc_co_u32_e32 v89, vcc, v77, v78, vcc
	v_mov_b32_e32 v90, s2
	v_add_co_u32_e32 v92, vcc, s3, v88
	v_addc_co_u32_e32 v93, vcc, v89, v90, vcc
	;; [unrolled: 3-line block ×4, first 2 shown]
	global_load_dwordx4 v[72:75], v[76:77], off
	s_nop 0
	global_load_dwordx4 v[76:79], v[88:89], off
	global_load_dwordx4 v[80:83], v[112:113], off offset:1520
	global_load_dwordx4 v[84:87], v[112:113], off offset:2144
	v_add_co_u32_e32 v116, vcc, s3, v114
	global_load_dwordx4 v[88:91], v[92:93], off
	s_nop 0
	global_load_dwordx4 v[92:95], v[104:105], off
	global_load_dwordx4 v[96:99], v[112:113], off offset:2768
	global_load_dwordx4 v[100:103], v[112:113], off offset:3392
	s_nop 0
	global_load_dwordx4 v[104:107], v[114:115], off
	global_load_dwordx4 v[108:111], v[112:113], off offset:4016
	v_mov_b32_e32 v112, s2
	v_addc_co_u32_e32 v117, vcc, v115, v112, vcc
	s_movk_i32 s8, 0x2000
	v_add_co_u32_e32 v132, vcc, s8, v118
	v_addc_co_u32_e32 v133, vcc, 0, v119, vcc
	v_mov_b32_e32 v118, s2
	v_add_co_u32_e32 v128, vcc, s3, v116
	v_addc_co_u32_e32 v129, vcc, v117, v118, vcc
	global_load_dwordx4 v[112:115], v[116:117], off
	s_nop 0
	global_load_dwordx4 v[116:119], v[128:129], off
	global_load_dwordx4 v[120:123], v[132:133], off offset:544
	global_load_dwordx4 v[124:127], v[132:133], off offset:1168
	v_mov_b32_e32 v130, s2
	v_add_co_u32_e32 v128, vcc, s3, v128
	v_addc_co_u32_e32 v129, vcc, v129, v130, vcc
	global_load_dwordx4 v[128:131], v[128:129], off
	s_nop 0
	global_load_dwordx4 v[132:135], v[132:133], off offset:1792
	s_waitcnt vmcnt(31)
	v_mul_f64 v[136:137], v[2:3], v[10:11]
	v_mul_f64 v[10:11], v[0:1], v[10:11]
	s_waitcnt vmcnt(27)
	v_mul_f64 v[140:141], v[18:19], v[26:27]
	v_mul_f64 v[26:27], v[16:17], v[26:27]
	;; [unrolled: 1-line block ×4, first 2 shown]
	s_waitcnt vmcnt(26)
	v_mul_f64 v[142:143], v[22:23], v[30:31]
	v_mul_f64 v[30:31], v[20:21], v[30:31]
	v_fma_f64 v[0:1], v[0:1], v[8:9], v[136:137]
	v_fma_f64 v[2:3], v[2:3], v[8:9], -v[10:11]
	s_waitcnt vmcnt(24)
	v_mul_f64 v[144:145], v[34:35], v[38:39]
	v_mul_f64 v[38:39], v[32:33], v[38:39]
	s_waitcnt vmcnt(22)
	v_mul_f64 v[146:147], v[46:47], v[42:43]
	v_mul_f64 v[42:43], v[44:45], v[42:43]
	v_fma_f64 v[8:9], v[16:17], v[24:25], v[140:141]
	v_fma_f64 v[10:11], v[18:19], v[24:25], -v[26:27]
	v_fma_f64 v[4:5], v[4:5], v[12:13], v[138:139]
	v_fma_f64 v[6:7], v[6:7], v[12:13], -v[14:15]
	;; [unrolled: 2-line block ×5, first 2 shown]
	s_waitcnt vmcnt(20)
	v_mul_f64 v[24:25], v[54:55], v[50:51]
	v_mul_f64 v[26:27], v[52:53], v[50:51]
	ds_write_b128 v255, v[0:3]
	s_waitcnt vmcnt(17)
	v_mul_f64 v[28:29], v[58:59], v[66:67]
	v_mul_f64 v[30:31], v[56:57], v[66:67]
	s_waitcnt vmcnt(16)
	v_mul_f64 v[32:33], v[62:63], v[70:71]
	v_mul_f64 v[34:35], v[60:61], v[70:71]
	v_fma_f64 v[24:25], v[52:53], v[48:49], v[24:25]
	v_fma_f64 v[26:27], v[54:55], v[48:49], -v[26:27]
	v_fma_f64 v[0:1], v[56:57], v[64:65], v[28:29]
	v_fma_f64 v[2:3], v[58:59], v[64:65], -v[30:31]
	;; [unrolled: 2-line block ×3, first 2 shown]
	ds_write_b128 v255, v[4:7] offset:624
	ds_write_b128 v255, v[8:11] offset:1248
	;; [unrolled: 1-line block ×8, first 2 shown]
	s_waitcnt vmcnt(13)
	v_mul_f64 v[0:1], v[74:75], v[82:83]
	v_mul_f64 v[2:3], v[72:73], v[82:83]
	s_waitcnt vmcnt(12)
	v_mul_f64 v[4:5], v[78:79], v[86:87]
	v_mul_f64 v[6:7], v[76:77], v[86:87]
	s_waitcnt vmcnt(9)
	v_mul_f64 v[8:9], v[90:91], v[98:99]
	v_mul_f64 v[10:11], v[88:89], v[98:99]
	s_waitcnt vmcnt(8)
	v_mul_f64 v[12:13], v[94:95], v[102:103]
	v_mul_f64 v[14:15], v[92:93], v[102:103]
	s_waitcnt vmcnt(6)
	v_mul_f64 v[16:17], v[106:107], v[110:111]
	v_mul_f64 v[18:19], v[104:105], v[110:111]
	v_fma_f64 v[0:1], v[72:73], v[80:81], v[0:1]
	v_fma_f64 v[2:3], v[74:75], v[80:81], -v[2:3]
	v_fma_f64 v[4:5], v[76:77], v[84:85], v[4:5]
	v_fma_f64 v[6:7], v[78:79], v[84:85], -v[6:7]
	;; [unrolled: 2-line block ×5, first 2 shown]
	s_waitcnt vmcnt(3)
	v_mul_f64 v[20:21], v[114:115], v[122:123]
	v_mul_f64 v[22:23], v[112:113], v[122:123]
	s_waitcnt vmcnt(2)
	v_mul_f64 v[24:25], v[118:119], v[126:127]
	v_mul_f64 v[26:27], v[116:117], v[126:127]
	;; [unrolled: 3-line block ×3, first 2 shown]
	v_fma_f64 v[20:21], v[112:113], v[120:121], v[20:21]
	v_fma_f64 v[22:23], v[114:115], v[120:121], -v[22:23]
	v_fma_f64 v[24:25], v[116:117], v[124:125], v[24:25]
	v_fma_f64 v[26:27], v[118:119], v[124:125], -v[26:27]
	;; [unrolled: 2-line block ×3, first 2 shown]
	ds_write_b128 v255, v[0:3] offset:5616
	ds_write_b128 v255, v[4:7] offset:6240
	;; [unrolled: 1-line block ×8, first 2 shown]
.LBB0_3:
	s_or_b64 exec, exec, s[6:7]
	s_load_dwordx2 s[2:3], s[4:5], 0x20
	s_load_dwordx2 s[8:9], s[4:5], 0x8
	s_waitcnt lgkmcnt(0)
	; wave barrier
	s_waitcnt lgkmcnt(0)
                                        ; implicit-def: $vgpr8_vgpr9
                                        ; implicit-def: $vgpr68_vgpr69
                                        ; implicit-def: $vgpr72_vgpr73
                                        ; implicit-def: $vgpr64_vgpr65
                                        ; implicit-def: $vgpr60_vgpr61
                                        ; implicit-def: $vgpr56_vgpr57
                                        ; implicit-def: $vgpr12_vgpr13
                                        ; implicit-def: $vgpr16_vgpr17
                                        ; implicit-def: $vgpr20_vgpr21
                                        ; implicit-def: $vgpr24_vgpr25
                                        ; implicit-def: $vgpr28_vgpr29
                                        ; implicit-def: $vgpr32_vgpr33
                                        ; implicit-def: $vgpr36_vgpr37
                                        ; implicit-def: $vgpr40_vgpr41
                                        ; implicit-def: $vgpr44_vgpr45
                                        ; implicit-def: $vgpr48_vgpr49
                                        ; implicit-def: $vgpr52_vgpr53
	s_and_saveexec_b64 s[4:5], s[0:1]
	s_cbranch_execz .LBB0_5
; %bb.4:
	ds_read_b128 v[8:11], v255
	ds_read_b128 v[68:71], v255 offset:624
	ds_read_b128 v[72:75], v255 offset:1248
	;; [unrolled: 1-line block ×16, first 2 shown]
.LBB0_5:
	s_or_b64 exec, exec, s[4:5]
	s_waitcnt lgkmcnt(0)
	v_add_f64 v[221:222], v[12:13], -v[32:33]
	s_mov_b32 s42, 0x6c9a05f6
	s_mov_b32 s43, 0xbfe9895b
	v_add_f64 v[134:135], v[70:71], -v[54:55]
	s_mov_b32 s18, 0x5d8e7cdc
	s_mov_b32 s19, 0xbfd71e95
	v_add_f64 v[124:125], v[68:69], -v[52:53]
	v_add_f64 v[110:111], v[68:69], v[52:53]
	v_mul_f64 v[76:77], v[221:222], s[42:43]
	v_add_f64 v[152:153], v[74:75], -v[50:51]
	s_mov_b32 s4, 0x370991
	v_mul_f64 v[88:89], v[134:135], s[18:19]
	s_mov_b32 s22, 0x2a9d6da3
	s_mov_b32 s5, 0x3fedd6d0
	s_mov_b32 s23, 0xbfe58eea
	v_add_f64 v[112:113], v[70:71], v[54:55]
	buffer_store_dword v76, off, s[64:67], 0 offset:16 ; 4-byte Folded Spill
	s_nop 0
	buffer_store_dword v77, off, s[64:67], 0 offset:20 ; 4-byte Folded Spill
	v_mul_f64 v[90:91], v[124:125], s[18:19]
	v_add_f64 v[120:121], v[72:73], v[48:49]
	v_fma_f64 v[0:1], v[110:111], s[4:5], v[88:89]
	v_mul_f64 v[166:167], v[152:153], s[22:23]
	v_add_f64 v[150:151], v[72:73], -v[48:49]
	s_mov_b32 s6, 0x75d4884
	s_mov_b32 s7, 0x3fe7a5f6
	v_add_f64 v[130:131], v[74:75], v[50:51]
	v_fma_f64 v[2:3], v[112:113], s[4:5], -v[90:91]
	v_add_f64 v[164:165], v[64:65], -v[44:45]
	v_add_f64 v[0:1], v[8:9], v[0:1]
	v_fma_f64 v[4:5], v[120:121], s[6:7], v[166:167]
	v_mul_f64 v[174:175], v[150:151], s[22:23]
	s_mov_b32 s26, 0x7c9e640b
	s_mov_b32 s27, 0xbfeca52d
	v_add_f64 v[142:143], v[66:67], v[46:47]
	v_add_f64 v[2:3], v[10:11], v[2:3]
	v_mul_f64 v[186:187], v[164:165], s[26:27]
	v_add_f64 v[182:183], v[60:61], -v[40:41]
	v_add_f64 v[0:1], v[4:5], v[0:1]
	v_fma_f64 v[4:5], v[130:131], s[6:7], -v[174:175]
	s_mov_b32 s10, 0x2b2883cd
	s_mov_b32 s30, 0xeb564b22
	;; [unrolled: 1-line block ×4, first 2 shown]
	v_add_f64 v[140:141], v[62:63], v[42:43]
	v_mul_f64 v[192:193], v[182:183], s[30:31]
	v_add_f64 v[205:206], v[56:57], -v[36:37]
	v_add_f64 v[2:3], v[4:5], v[2:3]
	v_fma_f64 v[4:5], v[142:143], s[10:11], -v[186:187]
	s_mov_b32 s16, 0x3259b75e
	s_mov_b32 s40, 0x923c349f
	;; [unrolled: 1-line block ×6, first 2 shown]
	v_add_f64 v[160:161], v[58:59], v[38:39]
	v_add_f64 v[2:3], v[4:5], v[2:3]
	v_fma_f64 v[4:5], v[140:141], s[16:17], -v[192:193]
	v_mul_f64 v[213:214], v[205:206], s[38:39]
	s_mov_b32 s24, 0xc61f0d01
	s_mov_b32 s25, 0xbfd183b1
	v_add_f64 v[180:181], v[14:15], v[34:35]
	v_add_f64 v[237:238], v[16:17], -v[28:29]
	s_mov_b32 s20, 0x6ed5f1bb
	s_mov_b32 s44, 0x4363dd80
	v_add_f64 v[2:3], v[4:5], v[2:3]
	v_fma_f64 v[4:5], v[160:161], s[24:25], -v[213:214]
	s_mov_b32 s21, 0xbfe348c8
	s_mov_b32 s45, 0x3fe0d888
	;; [unrolled: 1-line block ×4, first 2 shown]
	v_mul_f64 v[78:79], v[134:135], s[22:23]
	v_mul_f64 v[80:81], v[124:125], s[22:23]
	v_add_f64 v[168:169], v[66:67], -v[46:47]
	v_add_f64 v[2:3], v[4:5], v[2:3]
	v_add_f64 v[126:127], v[64:65], v[44:45]
	v_add_f64 v[176:177], v[62:63], -v[42:43]
	v_add_f64 v[136:137], v[60:61], v[40:41]
	v_add_f64 v[195:196], v[58:59], -v[38:39]
	;; [unrolled: 2-line block ×3, first 2 shown]
	v_mul_f64 v[172:173], v[168:169], s[26:27]
	v_add_f64 v[158:159], v[12:13], v[32:33]
	v_add_f64 v[239:240], v[18:19], -v[30:31]
	v_mul_f64 v[184:185], v[176:177], s[30:31]
	v_add_f64 v[170:171], v[16:17], v[28:29]
	v_mul_f64 v[203:204], v[195:196], s[38:39]
	s_mov_b32 s28, 0x910ea3b9
	v_mul_f64 v[211:212], v[225:226], s[42:43]
	v_fma_f64 v[6:7], v[126:127], s[10:11], v[172:173]
	s_mov_b32 s29, 0xbfeb34fa
	v_mul_f64 v[215:216], v[239:240], s[46:47]
	v_add_f64 v[178:179], v[18:19], v[30:31]
	v_mul_f64 v[86:87], v[168:169], s[42:43]
	v_mul_f64 v[92:93], v[164:165], s[42:43]
	v_add_f64 v[94:95], v[22:23], -v[26:27]
	v_add_f64 v[243:244], v[20:21], -v[24:25]
	v_fma_f64 v[4:5], v[180:181], s[20:21], -v[76:77]
	v_mul_f64 v[76:77], v[237:238], s[46:47]
	v_add_f64 v[0:1], v[6:7], v[0:1]
	v_fma_f64 v[6:7], v[136:137], s[16:17], v[184:185]
	s_mov_b32 s48, 0xacd6c6b4
	s_mov_b32 s49, 0xbfc7851a
	v_mul_f64 v[82:83], v[94:95], s[48:49]
	v_mul_f64 v[84:85], v[243:244], s[48:49]
	buffer_store_dword v76, off, s[64:67], 0 offset:32 ; 4-byte Folded Spill
	s_nop 0
	buffer_store_dword v77, off, s[64:67], 0 offset:36 ; 4-byte Folded Spill
	buffer_store_dword v78, off, s[64:67], 0 offset:80 ; 4-byte Folded Spill
	s_nop 0
	buffer_store_dword v79, off, s[64:67], 0 offset:84 ; 4-byte Folded Spill
	;; [unrolled: 3-line block ×3, first 2 shown]
	v_add_f64 v[0:1], v[6:7], v[0:1]
	v_fma_f64 v[6:7], v[148:149], s[24:25], v[203:204]
	v_add_f64 v[2:3], v[4:5], v[2:3]
	v_add_f64 v[190:191], v[22:23], v[26:27]
	s_mov_b32 s36, 0x7faef3
	s_mov_b32 s37, 0xbfef7484
	;; [unrolled: 1-line block ×4, first 2 shown]
	v_mul_f64 v[96:97], v[237:238], s[54:55]
	v_add_f64 v[0:1], v[6:7], v[0:1]
	v_fma_f64 v[6:7], v[158:159], s[20:21], v[211:212]
	v_mul_f64 v[98:99], v[225:226], s[18:19]
	v_mul_f64 v[231:232], v[134:135], s[26:27]
	;; [unrolled: 1-line block ×3, first 2 shown]
	s_mov_b32 s53, 0x3fc7851a
	s_mov_b32 s52, s48
	v_add_f64 v[188:189], v[20:21], v[24:25]
	v_mul_f64 v[235:236], v[168:169], s[52:53]
	v_add_f64 v[0:1], v[6:7], v[0:1]
	v_fma_f64 v[6:7], v[170:171], s[28:29], v[215:216]
	v_mul_f64 v[241:242], v[176:177], s[40:41]
	s_mov_b32 s51, 0x3fe58eea
	s_mov_b32 s50, s22
	v_mul_f64 v[227:228], v[195:196], s[50:51]
	s_mov_b32 s57, 0x3fd71e95
	s_mov_b32 s56, s18
	v_mul_f64 v[245:246], v[124:125], s[26:27]
	v_add_f64 v[0:1], v[6:7], v[0:1]
	v_mul_f64 v[247:248], v[150:151], s[42:43]
	v_mul_f64 v[253:254], v[164:165], s[52:53]
	;; [unrolled: 1-line block ×21, first 2 shown]
	s_mov_b32 s59, 0x3fe9895b
	s_mov_b32 s58, s42
	v_mul_f64 v[116:117], v[239:240], s[58:59]
	v_mul_f64 v[106:107], v[94:95], s[50:51]
	v_fma_f64 v[4:5], v[178:179], s[28:29], -v[76:77]
	v_fma_f64 v[6:7], v[110:111], s[6:7], v[78:79]
	v_mul_f64 v[78:79], v[152:153], s[30:31]
	v_fma_f64 v[76:77], v[112:113], s[6:7], -v[80:81]
	v_mul_f64 v[80:81], v[150:151], s[30:31]
	buffer_store_dword v78, off, s[64:67], 0 offset:96 ; 4-byte Folded Spill
	s_nop 0
	buffer_store_dword v79, off, s[64:67], 0 offset:100 ; 4-byte Folded Spill
	buffer_store_dword v80, off, s[64:67], 0 offset:184 ; 4-byte Folded Spill
	s_nop 0
	buffer_store_dword v81, off, s[64:67], 0 offset:188 ; 4-byte Folded Spill
	buffer_store_dword v86, off, s[64:67], 0 offset:112 ; 4-byte Folded Spill
	s_nop 0
	buffer_store_dword v87, off, s[64:67], 0 offset:116 ; 4-byte Folded Spill
	buffer_store_dword v92, off, s[64:67], 0 offset:176 ; 4-byte Folded Spill
	s_nop 0
	buffer_store_dword v93, off, s[64:67], 0 offset:180 ; 4-byte Folded Spill
	v_add_f64 v[6:7], v[8:9], v[6:7]
	v_add_f64 v[76:77], v[10:11], v[76:77]
	buffer_store_dword v82, off, s[64:67], 0 offset:48 ; 4-byte Folded Spill
	s_nop 0
	buffer_store_dword v83, off, s[64:67], 0 offset:52 ; 4-byte Folded Spill
	buffer_store_dword v84, off, s[64:67], 0 offset:64 ; 4-byte Folded Spill
	s_nop 0
	buffer_store_dword v85, off, s[64:67], 0 offset:68 ; 4-byte Folded Spill
	v_add_f64 v[2:3], v[4:5], v[2:3]
	v_fma_f64 v[78:79], v[120:121], s[16:17], v[78:79]
	v_fma_f64 v[80:81], v[130:131], s[16:17], -v[80:81]
	v_fma_f64 v[82:83], v[188:189], s[36:37], v[82:83]
	v_add_f64 v[6:7], v[78:79], v[6:7]
	v_fma_f64 v[78:79], v[126:127], s[20:21], v[86:87]
	v_add_f64 v[76:77], v[80:81], v[76:77]
	v_fma_f64 v[80:81], v[142:143], s[20:21], -v[92:93]
	v_mul_f64 v[86:87], v[176:177], s[48:49]
	v_mul_f64 v[92:93], v[182:183], s[48:49]
	buffer_store_dword v86, off, s[64:67], 0 offset:144 ; 4-byte Folded Spill
	s_nop 0
	buffer_store_dword v87, off, s[64:67], 0 offset:148 ; 4-byte Folded Spill
	buffer_store_dword v92, off, s[64:67], 0 offset:160 ; 4-byte Folded Spill
	s_nop 0
	buffer_store_dword v93, off, s[64:67], 0 offset:164 ; 4-byte Folded Spill
	v_fma_f64 v[4:5], v[190:191], s[36:37], -v[84:85]
	v_add_f64 v[76:77], v[80:81], v[76:77]
	v_add_f64 v[6:7], v[78:79], v[6:7]
	v_fma_f64 v[84:85], v[120:121], s[20:21], v[233:234]
	v_add_f64 v[199:200], v[82:83], v[0:1]
	v_mul_f64 v[0:1], v[195:196], s[44:45]
	v_add_f64 v[201:202], v[4:5], v[2:3]
	v_mul_f64 v[2:3], v[205:206], s[44:45]
	buffer_store_dword v2, off, s[64:67], 0 offset:208 ; 4-byte Folded Spill
	s_nop 0
	buffer_store_dword v3, off, s[64:67], 0 offset:212 ; 4-byte Folded Spill
	v_fma_f64 v[78:79], v[136:137], s[36:37], v[86:87]
	v_fma_f64 v[80:81], v[140:141], s[36:37], -v[92:93]
	v_mul_f64 v[92:93], v[221:222], s[40:41]
	buffer_store_dword v92, off, s[64:67], 0 offset:192 ; 4-byte Folded Spill
	s_nop 0
	buffer_store_dword v93, off, s[64:67], 0 offset:196 ; 4-byte Folded Spill
	buffer_store_dword v96, off, s[64:67], 0 offset:216 ; 4-byte Folded Spill
	s_nop 0
	buffer_store_dword v97, off, s[64:67], 0 offset:220 ; 4-byte Folded Spill
	;; [unrolled: 3-line block ×3, first 2 shown]
	v_add_f64 v[4:5], v[78:79], v[6:7]
	v_add_f64 v[6:7], v[80:81], v[76:77]
	v_fma_f64 v[76:77], v[110:111], s[10:11], v[231:232]
	v_fma_f64 v[78:79], v[112:113], s[10:11], -v[245:246]
	v_fma_f64 v[86:87], v[130:131], s[20:21], -v[247:248]
	v_fma_f64 v[80:81], v[148:149], s[28:29], v[0:1]
	v_fma_f64 v[82:83], v[160:161], s[28:29], -v[2:3]
	v_mul_f64 v[2:3], v[225:226], s[40:41]
	v_add_f64 v[76:77], v[8:9], v[76:77]
	v_add_f64 v[78:79], v[10:11], v[78:79]
	;; [unrolled: 1-line block ×4, first 2 shown]
	v_fma_f64 v[80:81], v[158:159], s[24:25], v[2:3]
	v_add_f64 v[76:77], v[84:85], v[76:77]
	v_fma_f64 v[84:85], v[126:127], s[36:37], v[235:236]
	v_add_f64 v[78:79], v[86:87], v[78:79]
	v_fma_f64 v[86:87], v[142:143], s[36:37], -v[253:254]
	v_add_f64 v[4:5], v[80:81], v[4:5]
	v_fma_f64 v[80:81], v[170:171], s[10:11], v[217:218]
	v_add_f64 v[76:77], v[84:85], v[76:77]
	v_fma_f64 v[84:85], v[136:137], s[24:25], v[241:242]
	v_add_f64 v[78:79], v[86:87], v[78:79]
	v_fma_f64 v[86:87], v[140:141], s[24:25], -v[249:250]
	v_add_f64 v[4:5], v[80:81], v[4:5]
	v_fma_f64 v[80:81], v[188:189], s[4:5], v[219:220]
	v_add_f64 v[76:77], v[84:85], v[76:77]
	v_fma_f64 v[84:85], v[148:149], s[6:7], v[227:228]
	v_add_f64 v[78:79], v[86:87], v[78:79]
	v_add_f64 v[207:208], v[80:81], v[4:5]
	v_fma_f64 v[80:81], v[188:189], s[28:29], v[223:224]
	v_add_f64 v[76:77], v[84:85], v[76:77]
	v_fma_f64 v[82:83], v[180:181], s[24:25], -v[92:93]
	v_mul_f64 v[92:93], v[205:206], s[50:51]
	v_fma_f64 v[84:85], v[158:159], s[4:5], v[98:99]
	v_mul_f64 v[98:99], v[239:240], s[30:31]
	v_add_f64 v[6:7], v[82:83], v[6:7]
	v_fma_f64 v[82:83], v[178:179], s[10:11], -v[96:97]
	v_mul_f64 v[96:97], v[243:244], s[56:57]
	buffer_store_dword v96, off, s[64:67], 0 offset:232 ; 4-byte Folded Spill
	s_nop 0
	buffer_store_dword v97, off, s[64:67], 0 offset:236 ; 4-byte Folded Spill
	buffer_store_dword v98, off, s[64:67], 0 offset:264 ; 4-byte Folded Spill
	s_nop 0
	buffer_store_dword v99, off, s[64:67], 0 offset:268 ; 4-byte Folded Spill
	v_fma_f64 v[86:87], v[160:161], s[6:7], -v[92:93]
	v_add_f64 v[6:7], v[82:83], v[6:7]
	v_add_f64 v[76:77], v[84:85], v[76:77]
	s_waitcnt lgkmcnt(0)
	; wave barrier
	v_add_f64 v[78:79], v[86:87], v[78:79]
	v_fma_f64 v[86:87], v[180:181], s[4:5], -v[251:252]
	v_add_f64 v[78:79], v[86:87], v[78:79]
	v_fma_f64 v[86:87], v[178:179], s[16:17], -v[104:105]
	;; [unrolled: 2-line block ×3, first 2 shown]
	v_fma_f64 v[84:85], v[170:171], s[16:17], v[98:99]
	v_add_f64 v[209:210], v[82:83], v[6:7]
	v_add_f64 v[76:77], v[84:85], v[76:77]
	v_fma_f64 v[82:83], v[190:191], s[28:29], -v[229:230]
	v_fma_f64 v[84:85], v[110:111], s[16:17], v[108:109]
	v_add_f64 v[96:97], v[80:81], v[76:77]
	v_add_f64 v[98:99], v[82:83], v[78:79]
	;; [unrolled: 1-line block ×3, first 2 shown]
	v_fma_f64 v[78:79], v[120:121], s[36:37], v[114:115]
	v_fma_f64 v[80:81], v[130:131], s[36:37], -v[144:145]
	v_add_f64 v[76:77], v[78:79], v[76:77]
	v_fma_f64 v[78:79], v[112:113], s[16:17], -v[138:139]
	v_add_f64 v[78:79], v[10:11], v[78:79]
	v_add_f64 v[78:79], v[80:81], v[78:79]
	v_fma_f64 v[80:81], v[126:127], s[24:25], v[128:129]
	v_add_f64 v[76:77], v[80:81], v[76:77]
	v_fma_f64 v[80:81], v[142:143], s[24:25], -v[154:155]
	v_add_f64 v[78:79], v[80:81], v[78:79]
	v_fma_f64 v[80:81], v[136:137], s[4:5], v[122:123]
	v_add_f64 v[76:77], v[80:81], v[76:77]
	v_fma_f64 v[80:81], v[140:141], s[4:5], -v[146:147]
	;; [unrolled: 4-line block ×4, first 2 shown]
	v_add_f64 v[78:79], v[80:81], v[78:79]
	v_fma_f64 v[80:81], v[170:171], s[20:21], v[116:117]
	v_add_f64 v[80:81], v[80:81], v[76:77]
	v_mul_f64 v[76:77], v[237:238], s[58:59]
	v_fma_f64 v[82:83], v[178:179], s[20:21], -v[76:77]
	v_add_f64 v[82:83], v[82:83], v[78:79]
	v_fma_f64 v[78:79], v[188:189], s[6:7], v[106:107]
	v_add_f64 v[100:101], v[78:79], v[80:81]
	v_mul_f64 v[78:79], v[243:244], s[50:51]
	v_fma_f64 v[80:81], v[190:191], s[6:7], -v[78:79]
	v_add_f64 v[102:103], v[80:81], v[82:83]
	s_and_saveexec_b64 s[34:35], s[0:1]
	s_cbranch_execz .LBB0_7
; %bb.6:
	v_mul_f64 v[80:81], v[112:113], s[36:37]
	v_mul_f64 v[84:85], v[130:131], s[4:5]
	buffer_store_dword v88, off, s[64:67], 0 offset:352 ; 4-byte Folded Spill
	s_nop 0
	buffer_store_dword v89, off, s[64:67], 0 offset:356 ; 4-byte Folded Spill
	buffer_store_dword v90, off, s[64:67], 0 offset:384 ; 4-byte Folded Spill
	s_nop 0
	buffer_store_dword v91, off, s[64:67], 0 offset:388 ; 4-byte Folded Spill
	v_mul_f64 v[90:91], v[152:153], s[56:57]
	buffer_store_dword v166, off, s[64:67], 0 offset:336 ; 4-byte Folded Spill
	s_nop 0
	buffer_store_dword v167, off, s[64:67], 0 offset:340 ; 4-byte Folded Spill
	buffer_store_dword v172, off, s[64:67], 0 offset:320 ; 4-byte Folded Spill
	s_nop 0
	buffer_store_dword v173, off, s[64:67], 0 offset:324 ; 4-byte Folded Spill
	;; [unrolled: 3-line block ×3, first 2 shown]
	v_fma_f64 v[82:83], v[124:125], s[52:53], v[80:81]
	v_fma_f64 v[86:87], v[150:151], s[18:19], v[84:85]
	buffer_store_dword v184, off, s[64:67], 0 offset:312 ; 4-byte Folded Spill
	s_nop 0
	buffer_store_dword v185, off, s[64:67], 0 offset:316 ; 4-byte Folded Spill
	buffer_store_dword v186, off, s[64:67], 0 offset:376 ; 4-byte Folded Spill
	s_nop 0
	buffer_store_dword v187, off, s[64:67], 0 offset:380 ; 4-byte Folded Spill
	v_fma_f64 v[166:167], v[120:121], s[4:5], v[90:91]
	buffer_store_dword v192, off, s[64:67], 0 offset:344 ; 4-byte Folded Spill
	s_nop 0
	buffer_store_dword v193, off, s[64:67], 0 offset:348 ; 4-byte Folded Spill
	v_fma_f64 v[80:81], v[124:125], s[48:49], v[80:81]
	buffer_store_dword v0, off, s[64:67], 0 offset:328 ; 4-byte Folded Spill
	s_nop 0
	buffer_store_dword v1, off, s[64:67], 0 offset:332 ; 4-byte Folded Spill
	v_add_f64 v[82:83], v[10:11], v[82:83]
	v_mov_b32_e32 v0, v197
	buffer_store_dword v198, off, s[64:67], 0 offset:272 ; 4-byte Folded Spill
	v_fma_f64 v[84:85], v[150:151], s[56:57], v[84:85]
	buffer_store_dword v199, off, s[64:67], 0 ; 4-byte Folded Spill
	s_nop 0
	buffer_store_dword v200, off, s[64:67], 0 offset:4 ; 4-byte Folded Spill
	buffer_store_dword v201, off, s[64:67], 0 offset:8 ; 4-byte Folded Spill
	;; [unrolled: 1-line block ×4, first 2 shown]
	s_nop 0
	buffer_store_dword v204, off, s[64:67], 0 offset:372 ; 4-byte Folded Spill
	v_add_f64 v[80:81], v[10:11], v[80:81]
	buffer_store_dword v207, off, s[64:67], 0 offset:128 ; 4-byte Folded Spill
	s_nop 0
	buffer_store_dword v208, off, s[64:67], 0 offset:132 ; 4-byte Folded Spill
	buffer_store_dword v209, off, s[64:67], 0 offset:136 ; 4-byte Folded Spill
	;; [unrolled: 1-line block ×3, first 2 shown]
	v_add_f64 v[82:83], v[86:87], v[82:83]
	v_mul_f64 v[86:87], v[134:135], s[48:49]
	s_mov_b32 s61, 0x3fefdd0d
	s_mov_b32 s60, s30
	v_add_f64 v[68:69], v[8:9], v[68:69]
	v_add_f64 v[70:71], v[10:11], v[70:71]
	;; [unrolled: 1-line block ×3, first 2 shown]
	v_fma_f64 v[88:89], v[110:111], s[36:37], v[86:87]
	v_fma_f64 v[84:85], v[110:111], s[36:37], -v[86:87]
	v_fma_f64 v[86:87], v[120:121], s[4:5], -v[90:91]
	v_mul_f64 v[90:91], v[130:131], s[10:11]
	v_add_f64 v[72:73], v[68:69], v[72:73]
	v_add_f64 v[74:75], v[70:71], v[74:75]
	;; [unrolled: 1-line block ×7, first 2 shown]
	v_mul_f64 v[166:167], v[142:143], s[28:29]
	v_add_f64 v[84:85], v[86:87], v[84:85]
	v_add_f64 v[72:73], v[72:73], v[60:61]
	;; [unrolled: 1-line block ×3, first 2 shown]
	v_fma_f64 v[172:173], v[164:165], s[44:45], v[166:167]
	v_fma_f64 v[86:87], v[164:165], s[46:47], v[166:167]
	v_mul_f64 v[166:167], v[142:143], s[16:17]
	v_add_f64 v[72:73], v[72:73], v[56:57]
	v_add_f64 v[58:59], v[74:75], v[58:59]
	;; [unrolled: 1-line block ×3, first 2 shown]
	v_mul_f64 v[172:173], v[168:169], s[46:47]
	v_add_f64 v[80:81], v[86:87], v[80:81]
	v_add_f64 v[12:13], v[72:73], v[12:13]
	;; [unrolled: 1-line block ×3, first 2 shown]
	v_fma_f64 v[174:175], v[126:127], s[28:29], v[172:173]
	v_fma_f64 v[86:87], v[126:127], s[28:29], -v[172:173]
	v_mul_f64 v[172:173], v[140:141], s[20:21]
	v_add_f64 v[12:13], v[12:13], v[16:17]
	v_add_f64 v[14:15], v[14:15], v[18:19]
	;; [unrolled: 1-line block ×3, first 2 shown]
	v_mul_f64 v[174:175], v[140:141], s[6:7]
	v_add_f64 v[84:85], v[86:87], v[84:85]
	v_add_f64 v[12:13], v[12:13], v[20:21]
	;; [unrolled: 1-line block ×3, first 2 shown]
	v_fma_f64 v[184:185], v[182:183], s[22:23], v[174:175]
	v_fma_f64 v[86:87], v[182:183], s[50:51], v[174:175]
	v_mul_f64 v[174:175], v[160:161], s[4:5]
	v_add_f64 v[12:13], v[12:13], v[24:25]
	v_add_f64 v[14:15], v[14:15], v[26:27]
	;; [unrolled: 1-line block ×3, first 2 shown]
	v_mul_f64 v[184:185], v[176:177], s[50:51]
	v_add_f64 v[80:81], v[86:87], v[80:81]
	v_add_f64 v[12:13], v[12:13], v[28:29]
	;; [unrolled: 1-line block ×3, first 2 shown]
	v_fma_f64 v[186:187], v[136:137], s[6:7], v[184:185]
	v_fma_f64 v[86:87], v[136:137], s[6:7], -v[184:185]
	v_mul_f64 v[184:185], v[180:181], s[36:37]
	v_add_f64 v[14:15], v[14:15], v[34:35]
	v_add_f64 v[12:13], v[12:13], v[32:33]
	;; [unrolled: 1-line block ×3, first 2 shown]
	v_mul_f64 v[186:187], v[160:161], s[20:21]
	v_add_f64 v[84:85], v[86:87], v[84:85]
	v_add_f64 v[14:15], v[14:15], v[38:39]
	;; [unrolled: 1-line block ×3, first 2 shown]
	v_fma_f64 v[192:193], v[205:206], s[58:59], v[186:187]
	v_fma_f64 v[86:87], v[205:206], s[42:43], v[186:187]
	v_mul_f64 v[186:187], v[178:179], s[6:7]
	v_add_f64 v[14:15], v[14:15], v[42:43]
	v_add_f64 v[12:13], v[12:13], v[40:41]
	;; [unrolled: 1-line block ×3, first 2 shown]
	v_mul_f64 v[192:193], v[195:196], s[42:43]
	v_add_f64 v[80:81], v[86:87], v[80:81]
	v_add_f64 v[14:15], v[14:15], v[46:47]
	;; [unrolled: 1-line block ×3, first 2 shown]
	v_fma_f64 v[197:198], v[148:149], s[20:21], v[192:193]
	v_add_f64 v[34:35], v[14:15], v[50:51]
	v_add_f64 v[12:13], v[12:13], v[48:49]
	;; [unrolled: 1-line block ×3, first 2 shown]
	v_mul_f64 v[197:198], v[180:181], s[10:11]
	v_fma_f64 v[199:200], v[221:222], s[26:27], v[197:198]
	v_fma_f64 v[86:87], v[221:222], s[54:55], v[197:198]
	v_mul_f64 v[197:198], v[152:153], s[54:55]
	v_add_f64 v[82:83], v[199:200], v[82:83]
	v_mul_f64 v[199:200], v[225:226], s[54:55]
	v_add_f64 v[80:81], v[86:87], v[80:81]
	v_fma_f64 v[201:202], v[158:159], s[10:11], v[199:200]
	v_add_f64 v[88:89], v[201:202], v[88:89]
	v_mul_f64 v[201:202], v[178:179], s[24:25]
	v_fma_f64 v[203:204], v[237:238], s[40:41], v[201:202]
	v_fma_f64 v[86:87], v[237:238], s[38:39], v[201:202]
	v_add_f64 v[82:83], v[203:204], v[82:83]
	v_mul_f64 v[203:204], v[239:240], s[38:39]
	v_add_f64 v[80:81], v[86:87], v[80:81]
	v_fma_f64 v[86:87], v[148:149], s[20:21], -v[192:193]
	v_mul_f64 v[192:193], v[134:135], s[46:47]
	v_fma_f64 v[207:208], v[170:171], s[24:25], v[203:204]
	v_add_f64 v[84:85], v[86:87], v[84:85]
	v_fma_f64 v[86:87], v[158:159], s[10:11], -v[199:200]
	v_fma_f64 v[199:200], v[120:121], s[10:11], v[197:198]
	v_add_f64 v[88:89], v[207:208], v[88:89]
	v_mul_f64 v[207:208], v[190:191], s[16:17]
	v_add_f64 v[84:85], v[86:87], v[84:85]
	v_fma_f64 v[86:87], v[170:171], s[24:25], -v[203:204]
	v_fma_f64 v[209:210], v[243:244], s[30:31], v[207:208]
	v_add_f64 v[84:85], v[86:87], v[84:85]
	v_fma_f64 v[86:87], v[243:244], s[60:61], v[207:208]
	v_add_f64 v[6:7], v[209:210], v[82:83]
	v_mul_f64 v[82:83], v[94:95], s[60:61]
	v_fma_f64 v[209:210], v[188:189], s[16:17], v[82:83]
	v_add_f64 v[4:5], v[209:210], v[88:89]
	v_fma_f64 v[88:89], v[188:189], s[16:17], -v[82:83]
	buffer_store_dword v4, off, s[64:67], 0 offset:280 ; 4-byte Folded Spill
	s_nop 0
	buffer_store_dword v5, off, s[64:67], 0 offset:284 ; 4-byte Folded Spill
	buffer_store_dword v6, off, s[64:67], 0 offset:288 ; 4-byte Folded Spill
	;; [unrolled: 1-line block ×3, first 2 shown]
	v_add_f64 v[4:5], v[88:89], v[84:85]
	v_mul_f64 v[88:89], v[112:113], s[28:29]
	v_add_f64 v[6:7], v[86:87], v[80:81]
	v_fma_f64 v[86:87], v[150:151], s[26:27], v[90:91]
	v_mul_f64 v[82:83], v[190:191], s[24:25]
	buffer_store_dword v4, off, s[64:67], 0 offset:296 ; 4-byte Folded Spill
	s_nop 0
	buffer_store_dword v5, off, s[64:67], 0 offset:300 ; 4-byte Folded Spill
	buffer_store_dword v6, off, s[64:67], 0 offset:304 ; 4-byte Folded Spill
	;; [unrolled: 1-line block ×3, first 2 shown]
	v_fma_f64 v[84:85], v[124:125], s[44:45], v[88:89]
	v_add_f64 v[84:85], v[10:11], v[84:85]
	v_add_f64 v[84:85], v[86:87], v[84:85]
	v_fma_f64 v[86:87], v[164:165], s[60:61], v[166:167]
	v_add_f64 v[84:85], v[86:87], v[84:85]
	v_fma_f64 v[86:87], v[182:183], s[42:43], v[172:173]
	;; [unrolled: 2-line block ×6, first 2 shown]
	v_add_f64 v[86:87], v[8:9], v[86:87]
	v_add_f64 v[86:87], v[199:200], v[86:87]
	v_mul_f64 v[199:200], v[168:169], s[30:31]
	v_fma_f64 v[201:202], v[126:127], s[16:17], v[199:200]
	v_add_f64 v[86:87], v[201:202], v[86:87]
	v_mul_f64 v[201:202], v[176:177], s[58:59]
	v_fma_f64 v[203:204], v[136:137], s[20:21], v[201:202]
	;; [unrolled: 3-line block ×5, first 2 shown]
	v_add_f64 v[80:81], v[80:81], v[86:87]
	v_fma_f64 v[86:87], v[243:244], s[40:41], v[82:83]
	v_fma_f64 v[82:83], v[243:244], s[38:39], v[82:83]
	v_add_f64 v[6:7], v[86:87], v[84:85]
	v_mov_b32_e32 v86, v211
	v_mov_b32_e32 v87, v212
	v_mul_f64 v[211:212], v[94:95], s[38:39]
	v_fma_f64 v[84:85], v[188:189], s[24:25], v[211:212]
	v_add_f64 v[4:5], v[84:85], v[80:81]
	v_fma_f64 v[80:81], v[124:125], s[46:47], v[88:89]
	v_fma_f64 v[88:89], v[150:151], s[54:55], v[90:91]
	v_fma_f64 v[90:91], v[120:121], s[10:11], -v[197:198]
	v_mul_f64 v[197:198], v[152:153], s[40:41]
	v_mov_b32_e32 v84, v219
	v_mov_b32_e32 v85, v220
	;; [unrolled: 1-line block ×3, first 2 shown]
	buffer_store_dword v4, off, s[64:67], 0 offset:416 ; 4-byte Folded Spill
	s_nop 0
	buffer_store_dword v5, off, s[64:67], 0 offset:420 ; 4-byte Folded Spill
	buffer_store_dword v6, off, s[64:67], 0 offset:424 ; 4-byte Folded Spill
	;; [unrolled: 1-line block ×3, first 2 shown]
	v_add_f64 v[80:81], v[10:11], v[80:81]
	v_mov_b32_e32 v219, v217
	v_mov_b32_e32 v218, v3
	;; [unrolled: 1-line block ×6, first 2 shown]
	v_mul_f64 v[213:214], v[190:191], s[10:11]
	v_add_f64 v[80:81], v[88:89], v[80:81]
	v_fma_f64 v[88:89], v[164:165], s[30:31], v[166:167]
	v_fma_f64 v[166:167], v[188:189], s[24:25], -v[211:212]
	v_mov_b32_e32 v4, v216
	v_mul_f64 v[215:216], v[94:95], s[54:55]
	v_mul_f64 v[152:153], v[152:153], s[44:45]
	;; [unrolled: 1-line block ×3, first 2 shown]
	v_add_f64 v[80:81], v[88:89], v[80:81]
	v_fma_f64 v[88:89], v[182:183], s[58:59], v[172:173]
	v_mul_f64 v[172:173], v[140:141], s[28:29]
	v_add_f64 v[80:81], v[88:89], v[80:81]
	v_fma_f64 v[88:89], v[205:206], s[18:19], v[174:175]
	v_mul_f64 v[174:175], v[160:161], s[16:17]
	;; [unrolled: 3-line block ×4, first 2 shown]
	v_add_f64 v[80:81], v[88:89], v[80:81]
	v_fma_f64 v[88:89], v[110:111], s[28:29], -v[192:193]
	v_mul_f64 v[192:193], v[134:135], s[42:43]
	v_mul_f64 v[134:135], v[134:135], s[38:39]
	v_add_f64 v[88:89], v[8:9], v[88:89]
	v_add_f64 v[88:89], v[90:91], v[88:89]
	v_fma_f64 v[90:91], v[126:127], s[16:17], -v[199:200]
	v_fma_f64 v[199:200], v[120:121], s[24:25], v[197:198]
	v_add_f64 v[88:89], v[90:91], v[88:89]
	v_fma_f64 v[90:91], v[136:137], s[20:21], -v[201:202]
	v_add_f64 v[88:89], v[90:91], v[88:89]
	v_fma_f64 v[90:91], v[148:149], s[4:5], -v[203:204]
	;; [unrolled: 2-line block ×4, first 2 shown]
	v_add_f64 v[88:89], v[90:91], v[88:89]
	v_add_f64 v[90:91], v[82:83], v[80:81]
	v_mul_f64 v[80:81], v[112:113], s[20:21]
	v_mul_f64 v[82:83], v[130:131], s[24:25]
	v_add_f64 v[88:89], v[166:167], v[88:89]
	v_mul_f64 v[166:167], v[142:143], s[4:5]
	v_fma_f64 v[68:69], v[124:125], s[58:59], v[80:81]
	v_fma_f64 v[70:71], v[150:151], s[38:39], v[82:83]
	v_fma_f64 v[64:65], v[124:125], s[42:43], v[80:81]
	v_fma_f64 v[66:67], v[150:151], s[40:41], v[82:83]
	v_fma_f64 v[80:81], v[120:121], s[24:25], -v[197:198]
	v_fma_f64 v[82:83], v[188:189], s[10:11], -v[215:216]
	v_add_f64 v[68:69], v[10:11], v[68:69]
	v_add_f64 v[64:65], v[10:11], v[64:65]
	v_add_f64 v[68:69], v[70:71], v[68:69]
	v_fma_f64 v[70:71], v[164:165], s[56:57], v[166:167]
	v_add_f64 v[64:65], v[66:67], v[64:65]
	v_fma_f64 v[66:67], v[164:165], s[18:19], v[166:167]
	v_mul_f64 v[166:167], v[142:143], s[6:7]
	v_add_f64 v[68:69], v[70:71], v[68:69]
	v_fma_f64 v[70:71], v[182:183], s[44:45], v[172:173]
	v_add_f64 v[64:65], v[66:67], v[64:65]
	v_fma_f64 v[66:67], v[182:183], s[46:47], v[172:173]
	v_mul_f64 v[172:173], v[140:141], s[10:11]
	v_fma_f64 v[74:75], v[164:165], s[50:51], v[166:167]
	v_add_f64 v[68:69], v[70:71], v[68:69]
	v_fma_f64 v[70:71], v[205:206], s[30:31], v[174:175]
	v_add_f64 v[64:65], v[66:67], v[64:65]
	v_fma_f64 v[66:67], v[205:206], s[60:61], v[174:175]
	v_mul_f64 v[174:175], v[160:161], s[36:37]
	v_add_f64 v[68:69], v[70:71], v[68:69]
	v_fma_f64 v[70:71], v[221:222], s[50:51], v[184:185]
	v_add_f64 v[64:65], v[66:67], v[64:65]
	v_fma_f64 v[66:67], v[221:222], s[22:23], v[184:185]
	v_mul_f64 v[184:185], v[180:181], s[16:17]
	;; [unrolled: 5-line block ×3, first 2 shown]
	v_add_f64 v[68:69], v[70:71], v[68:69]
	v_fma_f64 v[70:71], v[110:111], s[20:21], v[192:193]
	v_add_f64 v[64:65], v[66:67], v[64:65]
	v_fma_f64 v[66:67], v[110:111], s[20:21], -v[192:193]
	v_fma_f64 v[192:193], v[120:121], s[28:29], v[152:153]
	v_add_f64 v[70:71], v[8:9], v[70:71]
	v_add_f64 v[66:67], v[8:9], v[66:67]
	;; [unrolled: 1-line block ×3, first 2 shown]
	v_mul_f64 v[199:200], v[168:169], s[18:19]
	v_add_f64 v[66:67], v[80:81], v[66:67]
	v_mul_f64 v[168:169], v[168:169], s[50:51]
	v_fma_f64 v[201:202], v[126:127], s[4:5], v[199:200]
	v_fma_f64 v[80:81], v[126:127], s[4:5], -v[199:200]
	v_add_f64 v[70:71], v[201:202], v[70:71]
	v_mul_f64 v[201:202], v[176:177], s[46:47]
	v_add_f64 v[66:67], v[80:81], v[66:67]
	v_mul_f64 v[176:177], v[176:177], s[26:27]
	v_fma_f64 v[203:204], v[136:137], s[28:29], v[201:202]
	v_fma_f64 v[80:81], v[136:137], s[28:29], -v[201:202]
	v_mul_f64 v[200:201], v[190:191], s[20:21]
	v_add_f64 v[70:71], v[203:204], v[70:71]
	v_mul_f64 v[203:204], v[195:196], s[60:61]
	v_add_f64 v[66:67], v[80:81], v[66:67]
	v_fma_f64 v[207:208], v[148:149], s[16:17], v[203:204]
	v_fma_f64 v[80:81], v[148:149], s[16:17], -v[203:204]
	v_add_f64 v[70:71], v[207:208], v[70:71]
	v_mul_f64 v[207:208], v[225:226], s[22:23]
	v_add_f64 v[66:67], v[80:81], v[66:67]
	v_fma_f64 v[209:210], v[158:159], s[6:7], v[207:208]
	v_fma_f64 v[80:81], v[158:159], s[6:7], -v[207:208]
	v_add_f64 v[70:71], v[209:210], v[70:71]
	v_mul_f64 v[209:210], v[239:240], s[48:49]
	v_add_f64 v[66:67], v[80:81], v[66:67]
	v_fma_f64 v[80:81], v[170:171], s[36:37], -v[209:210]
	v_fma_f64 v[211:212], v[170:171], s[36:37], v[209:210]
	buffer_load_dword v207, off, s[64:67], 0 offset:128 ; 4-byte Folded Reload
	buffer_load_dword v208, off, s[64:67], 0 offset:132 ; 4-byte Folded Reload
	;; [unrolled: 1-line block ×4, first 2 shown]
	v_add_f64 v[80:81], v[80:81], v[66:67]
	v_fma_f64 v[66:67], v[243:244], s[54:55], v[213:214]
	v_add_f64 v[211:212], v[211:212], v[70:71]
	v_fma_f64 v[70:71], v[243:244], s[26:27], v[213:214]
	v_add_f64 v[66:67], v[66:67], v[64:65]
	v_add_f64 v[64:65], v[82:83], v[80:81]
	v_mul_f64 v[80:81], v[112:113], s[24:25]
	v_mul_f64 v[82:83], v[130:131], s[28:29]
	v_add_f64 v[70:71], v[70:71], v[68:69]
	v_fma_f64 v[68:69], v[188:189], s[10:11], v[215:216]
	v_fma_f64 v[60:61], v[124:125], s[40:41], v[80:81]
	;; [unrolled: 1-line block ×5, first 2 shown]
	v_fma_f64 v[82:83], v[120:121], s[28:29], -v[152:153]
	v_mul_f64 v[124:125], v[112:113], s[16:17]
	v_mul_f64 v[150:151], v[140:141], s[16:17]
	;; [unrolled: 1-line block ×3, first 2 shown]
	v_add_f64 v[60:61], v[10:11], v[60:61]
	v_add_f64 v[68:69], v[68:69], v[211:212]
	;; [unrolled: 1-line block ×4, first 2 shown]
	v_mul_f64 v[138:139], v[126:127], s[10:11]
	v_add_f64 v[60:61], v[62:63], v[60:61]
	v_fma_f64 v[62:63], v[164:165], s[22:23], v[166:167]
	v_add_f64 v[56:57], v[80:81], v[56:57]
	v_fma_f64 v[80:81], v[182:183], s[26:27], v[172:173]
	v_mul_f64 v[164:165], v[180:181], s[24:25]
	v_add_f64 v[124:125], v[10:11], v[124:125]
	v_mul_f64 v[166:167], v[178:179], s[28:29]
	v_add_f64 v[60:61], v[62:63], v[60:61]
	v_fma_f64 v[62:63], v[182:183], s[54:55], v[172:173]
	v_add_f64 v[56:57], v[74:75], v[56:57]
	v_fma_f64 v[74:75], v[205:206], s[48:49], v[174:175]
	v_mul_f64 v[172:173], v[188:189], s[36:37]
	v_add_f64 v[60:61], v[62:63], v[60:61]
	v_fma_f64 v[62:63], v[205:206], s[52:53], v[174:175]
	v_add_f64 v[56:57], v[80:81], v[56:57]
	v_fma_f64 v[80:81], v[221:222], s[60:61], v[184:185]
	;; [unrolled: 5-line block ×3, first 2 shown]
	v_add_f64 v[60:61], v[62:63], v[60:61]
	v_fma_f64 v[62:63], v[237:238], s[56:57], v[186:187]
	v_add_f64 v[56:57], v[80:81], v[56:57]
	v_fma_f64 v[80:81], v[243:244], s[42:43], v[200:201]
	;; [unrolled: 2-line block ×3, first 2 shown]
	v_add_f64 v[56:57], v[74:75], v[56:57]
	v_fma_f64 v[74:75], v[110:111], s[24:25], -v[134:135]
	v_mul_f64 v[134:135], v[130:131], s[36:37]
	v_add_f64 v[62:63], v[8:9], v[62:63]
	v_add_f64 v[56:57], v[80:81], v[56:57]
	;; [unrolled: 1-line block ×4, first 2 shown]
	v_mul_f64 v[144:145], v[126:127], s[20:21]
	v_add_f64 v[62:63], v[192:193], v[62:63]
	v_fma_f64 v[192:193], v[126:127], s[6:7], v[168:169]
	v_add_f64 v[74:75], v[82:83], v[74:75]
	v_fma_f64 v[82:83], v[126:127], s[6:7], -v[168:169]
	v_add_f64 v[124:125], v[134:135], v[124:125]
	v_mul_f64 v[134:135], v[140:141], s[4:5]
	v_mul_f64 v[168:169], v[178:179], s[10:11]
	v_add_f64 v[62:63], v[192:193], v[62:63]
	v_fma_f64 v[192:193], v[136:137], s[10:11], v[176:177]
	v_add_f64 v[74:75], v[82:83], v[74:75]
	v_fma_f64 v[82:83], v[136:137], s[10:11], -v[176:177]
	v_add_f64 v[134:135], v[146:147], v[134:135]
	v_mul_f64 v[146:147], v[136:137], s[16:17]
	v_mul_f64 v[176:177], v[188:189], s[28:29]
	v_add_f64 v[62:63], v[192:193], v[62:63]
	v_mul_f64 v[192:193], v[195:196], s[48:49]
	v_add_f64 v[74:75], v[82:83], v[74:75]
	v_fma_f64 v[194:195], v[148:149], s[36:37], v[192:193]
	v_fma_f64 v[82:83], v[148:149], s[36:37], -v[192:193]
	v_add_f64 v[62:63], v[194:195], v[62:63]
	v_mul_f64 v[194:195], v[225:226], s[60:61]
	v_add_f64 v[74:75], v[82:83], v[74:75]
	v_fma_f64 v[196:197], v[158:159], s[16:17], v[194:195]
	v_fma_f64 v[82:83], v[158:159], s[16:17], -v[194:195]
	;; [unrolled: 5-line block ×3, first 2 shown]
	v_mov_b32_e32 v197, v0
	v_add_f64 v[198:199], v[198:199], v[62:63]
	v_fma_f64 v[62:63], v[243:244], s[58:59], v[200:201]
	v_add_f64 v[82:83], v[82:83], v[74:75]
	v_mul_f64 v[74:75], v[142:143], s[24:25]
	v_add_f64 v[62:63], v[62:63], v[60:61]
	v_fma_f64 v[60:61], v[188:189], s[20:21], v[94:95]
	v_add_f64 v[74:75], v[154:155], v[74:75]
	v_mul_f64 v[154:155], v[160:161], s[24:25]
	v_fma_f64 v[94:95], v[188:189], s[20:21], -v[94:95]
	v_add_f64 v[60:61], v[60:61], v[198:199]
	buffer_load_dword v198, off, s[64:67], 0 offset:272 ; 4-byte Folded Reload
	buffer_load_dword v199, off, s[64:67], 0 ; 4-byte Folded Reload
	buffer_load_dword v200, off, s[64:67], 0 offset:4 ; 4-byte Folded Reload
	buffer_load_dword v201, off, s[64:67], 0 offset:8 ; 4-byte Folded Reload
	;; [unrolled: 1-line block ×3, first 2 shown]
	v_add_f64 v[74:75], v[74:75], v[124:125]
	v_mul_f64 v[124:125], v[160:161], s[10:11]
	buffer_load_dword v5, off, s[64:67], 0 offset:200 ; 4-byte Folded Reload
	buffer_load_dword v6, off, s[64:67], 0 offset:204 ; 4-byte Folded Reload
	v_add_f64 v[74:75], v[134:135], v[74:75]
	v_add_f64 v[124:125], v[156:157], v[124:125]
	v_mul_f64 v[134:135], v[180:181], s[28:29]
	v_mul_f64 v[156:157], v[148:149], s[28:29]
	v_add_f64 v[74:75], v[124:125], v[74:75]
	v_mul_f64 v[124:125], v[178:179], s[20:21]
	v_add_f64 v[134:135], v[162:163], v[134:135]
	;; [unrolled: 2-line block ×4, first 2 shown]
	v_mul_f64 v[134:135], v[160:161], s[6:7]
	v_mul_f64 v[160:161], v[160:161], s[28:29]
	v_add_f64 v[78:79], v[78:79], v[124:125]
	v_mul_f64 v[124:125], v[110:111], s[16:17]
	v_add_f64 v[74:75], v[76:77], v[74:75]
	;; [unrolled: 2-line block ×3, first 2 shown]
	v_mul_f64 v[134:135], v[130:131], s[6:7]
	v_mul_f64 v[126:127], v[126:127], s[36:37]
	v_add_f64 v[108:109], v[124:125], -v[108:109]
	v_mul_f64 v[124:125], v[120:121], s[36:37]
	v_add_f64 v[76:77], v[76:77], -v[128:129]
	v_mul_f64 v[128:129], v[142:143], s[36:37]
	v_add_f64 v[74:75], v[78:79], v[74:75]
	v_add_f64 v[126:127], v[126:127], -v[235:236]
	v_add_f64 v[108:109], v[8:9], v[108:109]
	v_add_f64 v[114:115], v[124:125], -v[114:115]
	v_mul_f64 v[124:125], v[130:131], s[20:21]
	v_mul_f64 v[130:131], v[130:131], s[16:17]
	v_add_f64 v[128:129], v[253:254], v[128:129]
	v_add_f64 v[108:109], v[114:115], v[108:109]
	v_mul_f64 v[114:115], v[136:137], s[4:5]
	v_add_f64 v[124:125], v[247:248], v[124:125]
	v_add_f64 v[76:77], v[76:77], v[108:109]
	v_mul_f64 v[108:109], v[148:149], s[10:11]
	v_add_f64 v[114:115], v[114:115], -v[122:123]
	v_mul_f64 v[122:123], v[112:113], s[10:11]
	v_mul_f64 v[148:149], v[148:149], s[6:7]
	v_add_f64 v[108:109], v[108:109], -v[132:133]
	v_mul_f64 v[132:133], v[112:113], s[4:5]
	v_mul_f64 v[112:113], v[112:113], s[6:7]
	v_add_f64 v[76:77], v[114:115], v[76:77]
	v_mul_f64 v[114:115], v[158:159], s[28:29]
	v_add_f64 v[122:123], v[245:246], v[122:123]
	v_add_f64 v[148:149], v[148:149], -v[227:228]
	s_waitcnt vmcnt(0)
	v_add_f64 v[112:113], v[5:6], v[112:113]
	buffer_load_dword v5, off, s[64:67], 0 offset:184 ; 4-byte Folded Reload
	buffer_load_dword v6, off, s[64:67], 0 offset:188 ; 4-byte Folded Reload
	v_add_f64 v[114:115], v[114:115], -v[118:119]
	v_mul_f64 v[118:119], v[170:171], s[20:21]
	v_add_f64 v[122:123], v[10:11], v[122:123]
	v_add_f64 v[76:77], v[108:109], v[76:77]
	v_mul_f64 v[108:109], v[110:111], s[4:5]
	v_add_f64 v[112:113], v[10:11], v[112:113]
	v_add_f64 v[116:117], v[118:119], -v[116:117]
	v_mul_f64 v[118:119], v[140:141], s[24:25]
	v_add_f64 v[122:123], v[124:125], v[122:123]
	v_mul_f64 v[140:141], v[140:141], s[36:37]
	v_mul_f64 v[124:125], v[188:189], s[6:7]
	v_add_f64 v[76:77], v[114:115], v[76:77]
	v_mul_f64 v[114:115], v[110:111], s[6:7]
	v_mul_f64 v[110:111], v[110:111], s[10:11]
	v_add_f64 v[118:119], v[249:250], v[118:119]
	v_add_f64 v[122:123], v[128:129], v[122:123]
	v_mul_f64 v[128:129], v[178:179], s[16:17]
	v_add_f64 v[106:107], v[124:125], -v[106:107]
	v_mul_f64 v[124:125], v[120:121], s[6:7]
	v_add_f64 v[76:77], v[116:117], v[76:77]
	v_add_f64 v[110:111], v[110:111], -v[231:232]
	v_mul_f64 v[116:117], v[180:181], s[4:5]
	v_mul_f64 v[178:179], v[190:191], s[28:29]
	v_add_f64 v[118:119], v[118:119], v[122:123]
	v_add_f64 v[104:105], v[104:105], v[128:129]
	v_mul_f64 v[128:129], v[120:121], s[16:17]
	v_mul_f64 v[120:121], v[120:121], s[20:21]
	;; [unrolled: 1-line block ×3, first 2 shown]
	v_add_f64 v[110:111], v[8:9], v[110:111]
	v_add_f64 v[116:117], v[251:252], v[116:117]
	v_mul_f64 v[136:137], v[136:137], s[36:37]
	v_add_f64 v[92:93], v[92:93], v[118:119]
	v_mul_f64 v[118:119], v[142:143], s[10:11]
	v_mul_f64 v[142:143], v[142:143], s[20:21]
	v_add_f64 v[120:121], v[120:121], -v[233:234]
	v_add_f64 v[122:123], v[122:123], -v[241:242]
	v_add_f64 v[58:59], v[229:230], v[178:179]
	v_add_f64 v[78:79], v[116:117], v[92:93]
	;; [unrolled: 1-line block ×3, first 2 shown]
	v_mul_f64 v[120:121], v[158:159], s[20:21]
	v_add_f64 v[78:79], v[104:105], v[78:79]
	v_add_f64 v[110:111], v[126:127], v[110:111]
	v_mul_f64 v[126:127], v[170:171], s[28:29]
	v_add_f64 v[110:111], v[122:123], v[110:111]
	v_mul_f64 v[122:123], v[190:191], s[36:37]
	v_add_f64 v[110:111], v[148:149], v[110:111]
	s_waitcnt vmcnt(0)
	v_add_f64 v[130:131], v[5:6], v[130:131]
	buffer_load_dword v5, off, s[64:67], 0 offset:176 ; 4-byte Folded Reload
	buffer_load_dword v6, off, s[64:67], 0 offset:180 ; 4-byte Folded Reload
	v_add_f64 v[112:113], v[130:131], v[112:113]
	v_mul_f64 v[130:131], v[158:159], s[24:25]
	v_mul_f64 v[158:159], v[158:159], s[4:5]
	s_waitcnt vmcnt(0)
	v_add_f64 v[142:143], v[5:6], v[142:143]
	buffer_load_dword v5, off, s[64:67], 0 offset:160 ; 4-byte Folded Reload
	buffer_load_dword v6, off, s[64:67], 0 offset:164 ; 4-byte Folded Reload
	v_add_f64 v[112:113], v[142:143], v[112:113]
	v_mul_f64 v[142:143], v[170:171], s[10:11]
	v_mul_f64 v[170:171], v[170:171], s[16:17]
	s_waitcnt vmcnt(0)
	v_add_f64 v[140:141], v[5:6], v[140:141]
	buffer_load_dword v5, off, s[64:67], 0 offset:208 ; 4-byte Folded Reload
	buffer_load_dword v6, off, s[64:67], 0 offset:212 ; 4-byte Folded Reload
	v_add_f64 v[112:113], v[140:141], v[112:113]
	v_mul_f64 v[140:141], v[190:191], s[4:5]
	s_waitcnt vmcnt(0)
	v_add_f64 v[160:161], v[5:6], v[160:161]
	buffer_load_dword v5, off, s[64:67], 0 offset:192 ; 4-byte Folded Reload
	buffer_load_dword v6, off, s[64:67], 0 offset:196 ; 4-byte Folded Reload
	v_add_f64 v[92:93], v[160:161], v[112:113]
	s_waitcnt vmcnt(0)
	v_add_f64 v[80:81], v[5:6], v[164:165]
	buffer_load_dword v5, off, s[64:67], 0 offset:248 ; 4-byte Folded Reload
	buffer_load_dword v6, off, s[64:67], 0 offset:252 ; 4-byte Folded Reload
	v_add_f64 v[80:81], v[80:81], v[92:93]
	v_add_f64 v[92:93], v[176:177], -v[223:224]
	s_waitcnt vmcnt(0)
	v_add_f64 v[72:73], v[158:159], -v[5:6]
	buffer_load_dword v5, off, s[64:67], 0 offset:216 ; 4-byte Folded Reload
	buffer_load_dword v6, off, s[64:67], 0 offset:220 ; 4-byte Folded Reload
	v_add_f64 v[18:19], v[72:73], v[110:111]
	s_waitcnt vmcnt(0)
	v_add_f64 v[104:105], v[5:6], v[168:169]
	buffer_load_dword v5, off, s[64:67], 0 offset:264 ; 4-byte Folded Reload
	buffer_load_dword v6, off, s[64:67], 0 offset:268 ; 4-byte Folded Reload
	v_add_f64 v[80:81], v[104:105], v[80:81]
	s_waitcnt vmcnt(0)
	v_add_f64 v[16:17], v[170:171], -v[5:6]
	buffer_load_dword v5, off, s[64:67], 0 offset:232 ; 4-byte Folded Reload
	buffer_load_dword v6, off, s[64:67], 0 offset:236 ; 4-byte Folded Reload
	v_add_f64 v[36:37], v[16:17], v[18:19]
	s_waitcnt vmcnt(0)
	v_add_f64 v[72:73], v[5:6], v[140:141]
	buffer_load_dword v5, off, s[64:67], 0 offset:384 ; 4-byte Folded Reload
	buffer_load_dword v6, off, s[64:67], 0 offset:388 ; 4-byte Folded Reload
	v_add_f64 v[14:15], v[72:73], v[80:81]
	v_add_f64 v[72:73], v[106:107], v[76:77]
	s_waitcnt vmcnt(0)
	v_add_f64 v[110:111], v[5:6], v[132:133]
	buffer_load_dword v5, off, s[64:67], 0 offset:352 ; 4-byte Folded Reload
	buffer_load_dword v6, off, s[64:67], 0 offset:356 ; 4-byte Folded Reload
	v_add_f64 v[10:11], v[10:11], v[110:111]
	s_waitcnt vmcnt(0)
	v_add_f64 v[20:21], v[108:109], -v[5:6]
	buffer_load_dword v5, off, s[64:67], 0 offset:80 ; 4-byte Folded Reload
	buffer_load_dword v6, off, s[64:67], 0 offset:84 ; 4-byte Folded Reload
	v_add_f64 v[20:21], v[8:9], v[20:21]
	s_waitcnt vmcnt(0)
	v_add_f64 v[22:23], v[114:115], -v[5:6]
	;; [unrolled: 5-line block ×3, first 2 shown]
	buffer_load_dword v5, off, s[64:67], 0 offset:400 ; 4-byte Folded Reload
	buffer_load_dword v6, off, s[64:67], 0 offset:404 ; 4-byte Folded Reload
	v_add_f64 v[8:9], v[104:105], v[8:9]
	s_waitcnt vmcnt(0)
	v_add_f64 v[108:109], v[5:6], v[134:135]
	buffer_load_dword v5, off, s[64:67], 0 offset:336 ; 4-byte Folded Reload
	buffer_load_dword v6, off, s[64:67], 0 offset:340 ; 4-byte Folded Reload
	v_add_f64 v[10:11], v[108:109], v[10:11]
	s_waitcnt vmcnt(0)
	v_add_f64 v[110:111], v[124:125], -v[5:6]
	buffer_load_dword v5, off, s[64:67], 0 offset:112 ; 4-byte Folded Reload
	buffer_load_dword v6, off, s[64:67], 0 offset:116 ; 4-byte Folded Reload
	v_add_f64 v[20:21], v[110:111], v[20:21]
	s_waitcnt vmcnt(0)
	v_add_f64 v[22:23], v[144:145], -v[5:6]
	buffer_load_dword v5, off, s[64:67], 0 offset:376 ; 4-byte Folded Reload
	buffer_load_dword v6, off, s[64:67], 0 offset:380 ; 4-byte Folded Reload
	v_add_f64 v[8:9], v[22:23], v[8:9]
	s_waitcnt vmcnt(0)
	v_add_f64 v[24:25], v[5:6], v[118:119]
	buffer_load_dword v5, off, s[64:67], 0 offset:320 ; 4-byte Folded Reload
	buffer_load_dword v6, off, s[64:67], 0 offset:324 ; 4-byte Folded Reload
	v_add_f64 v[10:11], v[24:25], v[10:11]
	s_waitcnt vmcnt(0)
	v_add_f64 v[26:27], v[138:139], -v[5:6]
	buffer_load_dword v5, off, s[64:67], 0 offset:144 ; 4-byte Folded Reload
	buffer_load_dword v6, off, s[64:67], 0 offset:148 ; 4-byte Folded Reload
	v_add_f64 v[20:21], v[26:27], v[20:21]
	v_add_f64 v[26:27], v[1:2], v[154:155]
	s_waitcnt vmcnt(0)
	v_add_f64 v[28:29], v[136:137], -v[5:6]
	buffer_load_dword v5, off, s[64:67], 0 offset:344 ; 4-byte Folded Reload
	buffer_load_dword v6, off, s[64:67], 0 offset:348 ; 4-byte Folded Reload
	v_add_f64 v[8:9], v[28:29], v[8:9]
	s_waitcnt vmcnt(0)
	v_add_f64 v[30:31], v[5:6], v[150:151]
	buffer_load_dword v5, off, s[64:67], 0 offset:312 ; 4-byte Folded Reload
	buffer_load_dword v6, off, s[64:67], 0 offset:316 ; 4-byte Folded Reload
	v_add_f64 v[10:11], v[30:31], v[10:11]
	v_add_f64 v[10:11], v[26:27], v[10:11]
	v_add_f64 v[26:27], v[120:121], -v[86:87]
	s_waitcnt vmcnt(0)
	v_add_f64 v[24:25], v[146:147], -v[5:6]
	buffer_load_dword v5, off, s[64:67], 0 offset:328 ; 4-byte Folded Reload
	buffer_load_dword v6, off, s[64:67], 0 offset:332 ; 4-byte Folded Reload
	;; [unrolled: 1-line block ×4, first 2 shown]
	v_add_f64 v[20:21], v[24:25], v[20:21]
	v_add_f64 v[24:25], v[130:131], -v[217:218]
	s_waitcnt vmcnt(2)
	v_add_f64 v[22:23], v[156:157], -v[5:6]
	s_waitcnt vmcnt(0)
	v_add_f64 v[30:31], v[152:153], -v[0:1]
	buffer_load_dword v0, off, s[64:67], 0 offset:16 ; 4-byte Folded Reload
	buffer_load_dword v1, off, s[64:67], 0 offset:20 ; 4-byte Folded Reload
	v_add_f64 v[8:9], v[22:23], v[8:9]
	v_add_f64 v[20:21], v[30:31], v[20:21]
	v_add_f64 v[22:23], v[142:143], -v[219:220]
	v_add_f64 v[8:9], v[24:25], v[8:9]
	v_add_f64 v[20:21], v[26:27], v[20:21]
	v_add_f64 v[24:25], v[174:175], -v[84:85]
	v_add_f64 v[8:9], v[22:23], v[8:9]
	v_add_f64 v[22:23], v[34:35], v[54:55]
	;; [unrolled: 1-line block ×3, first 2 shown]
	s_waitcnt vmcnt(0)
	v_add_f64 v[28:29], v[0:1], v[162:163]
	buffer_load_dword v0, off, s[64:67], 0 offset:32 ; 4-byte Folded Reload
	buffer_load_dword v1, off, s[64:67], 0 offset:36 ; 4-byte Folded Reload
	v_add_f64 v[10:11], v[28:29], v[10:11]
	v_add_f64 v[28:29], v[126:127], -v[3:4]
	v_add_f64 v[28:29], v[28:29], v[20:21]
	v_add_f64 v[20:21], v[12:13], v[52:53]
	;; [unrolled: 1-line block ×4, first 2 shown]
	s_waitcnt vmcnt(0)
	v_add_f64 v[30:31], v[0:1], v[166:167]
	buffer_load_dword v0, off, s[64:67], 0 offset:64 ; 4-byte Folded Reload
	buffer_load_dword v1, off, s[64:67], 0 offset:68 ; 4-byte Folded Reload
	v_add_f64 v[30:31], v[30:31], v[10:11]
	v_add_f64 v[10:11], v[58:59], v[78:79]
	s_waitcnt vmcnt(0)
	v_add_f64 v[26:27], v[0:1], v[122:123]
	buffer_load_dword v0, off, s[64:67], 0 offset:48 ; 4-byte Folded Reload
	buffer_load_dword v1, off, s[64:67], 0 offset:52 ; 4-byte Folded Reload
	v_add_f64 v[18:19], v[26:27], v[30:31]
	s_waitcnt vmcnt(0)
	v_add_f64 v[32:33], v[172:173], -v[0:1]
	v_mul_lo_u16_e32 v0, 17, v198
	v_lshlrev_b32_e32 v0, 4, v0
	v_add_f64 v[16:17], v[32:33], v[28:29]
	ds_write_b128 v0, v[20:23]
	ds_write_b128 v0, v[16:19] offset:16
	ds_write_b128 v0, v[12:15] offset:32
	;; [unrolled: 1-line block ×7, first 2 shown]
	buffer_load_dword v1, off, s[64:67], 0 offset:296 ; 4-byte Folded Reload
	buffer_load_dword v2, off, s[64:67], 0 offset:300 ; 4-byte Folded Reload
	buffer_load_dword v3, off, s[64:67], 0 offset:304 ; 4-byte Folded Reload
	buffer_load_dword v4, off, s[64:67], 0 offset:308 ; 4-byte Folded Reload
	s_waitcnt vmcnt(0)
	ds_write_b128 v0, v[1:4] offset:128
	buffer_load_dword v1, off, s[64:67], 0 offset:280 ; 4-byte Folded Reload
	buffer_load_dword v2, off, s[64:67], 0 offset:284 ; 4-byte Folded Reload
	buffer_load_dword v3, off, s[64:67], 0 offset:288 ; 4-byte Folded Reload
	buffer_load_dword v4, off, s[64:67], 0 offset:292 ; 4-byte Folded Reload
	s_waitcnt vmcnt(0)
	ds_write_b128 v0, v[1:4] offset:144
	;; [unrolled: 6-line block ×3, first 2 shown]
	ds_write_b128 v0, v[68:71] offset:176
	ds_write_b128 v0, v[60:63] offset:192
	ds_write_b128 v0, v[100:103] offset:208
	ds_write_b128 v0, v[96:99] offset:224
	ds_write_b128 v0, v[207:210] offset:240
	ds_write_b128 v0, v[199:202] offset:256
.LBB0_7:
	s_or_b64 exec, exec, s[34:35]
	s_load_dwordx4 s[4:7], s[2:3], 0x0
	s_movk_i32 s2, 0xf1
	v_mul_lo_u16_sdwa v0, v198, s2 dst_sel:DWORD dst_unused:UNUSED_PAD src0_sel:BYTE_0 src1_sel:DWORD
	v_lshrrev_b16_e32 v68, 12, v0
	v_mul_lo_u16_e32 v0, 17, v68
	v_sub_u16_e32 v0, v198, v0
	v_and_b32_e32 v69, 0xff, v0
	v_mul_u32_u24_e32 v0, 12, v69
	v_lshlrev_b32_e32 v0, 4, v0
	s_waitcnt lgkmcnt(0)
	; wave barrier
	s_waitcnt lgkmcnt(0)
	global_load_dwordx4 v[44:47], v0, s[8:9]
	global_load_dwordx4 v[26:29], v0, s[8:9] offset:16
	global_load_dwordx4 v[30:33], v0, s[8:9] offset:32
	;; [unrolled: 1-line block ×11, first 2 shown]
	ds_read_b128 v[70:73], v255
	ds_read_b128 v[48:51], v255 offset:816
	ds_read_b128 v[52:55], v255 offset:1632
	;; [unrolled: 1-line block ×12, first 2 shown]
	s_mov_b32 s30, 0x42a4c3d2
	s_mov_b32 s38, 0x66966769
	;; [unrolled: 1-line block ×30, first 2 shown]
	v_mul_u32_u24_e32 v0, 0xdd, v68
	v_add_lshl_u32 v192, v0, v69, 4
	s_waitcnt vmcnt(11) lgkmcnt(11)
	v_mul_f64 v[94:95], v[50:51], v[46:47]
	s_waitcnt vmcnt(10) lgkmcnt(10)
	v_mul_f64 v[122:123], v[54:55], v[28:29]
	;; [unrolled: 2-line block ×4, first 2 shown]
	v_mul_f64 v[120:121], v[48:49], v[46:47]
	s_waitcnt vmcnt(6) lgkmcnt(6)
	v_mul_f64 v[138:139], v[84:85], v[38:39]
	s_waitcnt vmcnt(5) lgkmcnt(5)
	;; [unrolled: 2-line block ×4, first 2 shown]
	v_mul_f64 v[150:151], v[106:107], v[23:24]
	v_mul_f64 v[124:125], v[52:53], v[28:29]
	;; [unrolled: 1-line block ×3, first 2 shown]
	s_waitcnt vmcnt(0) lgkmcnt(0)
	v_mul_f64 v[162:163], v[118:119], v[19:20]
	v_mul_f64 v[132:133], v[74:75], v[3:4]
	;; [unrolled: 1-line block ×7, first 2 shown]
	v_fma_f64 v[48:49], v[48:49], v[44:45], -v[94:95]
	v_fma_f64 v[94:95], v[52:53], v[26:27], -v[122:123]
	;; [unrolled: 1-line block ×4, first 2 shown]
	buffer_store_dword v1, off, s[64:67], 0 offset:16 ; 4-byte Folded Spill
	s_nop 0
	buffer_store_dword v2, off, s[64:67], 0 offset:20 ; 4-byte Folded Spill
	buffer_store_dword v3, off, s[64:67], 0 offset:24 ; 4-byte Folded Spill
	;; [unrolled: 1-line block ×3, first 2 shown]
	v_fma_f64 v[52:53], v[82:83], v[36:37], -v[138:139]
	v_fma_f64 v[64:65], v[86:87], v[5:6], -v[142:143]
	buffer_store_dword v5, off, s[64:67], 0 offset:32 ; 4-byte Folded Spill
	s_nop 0
	buffer_store_dword v6, off, s[64:67], 0 offset:36 ; 4-byte Folded Spill
	buffer_store_dword v7, off, s[64:67], 0 offset:40 ; 4-byte Folded Spill
	;; [unrolled: 1-line block ×3, first 2 shown]
	v_fma_f64 v[82:83], v[90:91], v[178:179], -v[146:147]
	v_fma_f64 v[86:87], v[104:105], v[21:22], -v[150:151]
	buffer_store_dword v21, off, s[64:67], 0 offset:96 ; 4-byte Folded Spill
	s_nop 0
	buffer_store_dword v22, off, s[64:67], 0 offset:100 ; 4-byte Folded Spill
	buffer_store_dword v23, off, s[64:67], 0 offset:104 ; 4-byte Folded Spill
	;; [unrolled: 1-line block ×3, first 2 shown]
	v_fma_f64 v[90:91], v[116:117], v[17:18], -v[162:163]
	buffer_store_dword v17, off, s[64:67], 0 offset:80 ; 4-byte Folded Spill
	s_nop 0
	buffer_store_dword v18, off, s[64:67], 0 offset:84 ; 4-byte Folded Spill
	buffer_store_dword v19, off, s[64:67], 0 offset:88 ; 4-byte Folded Spill
	;; [unrolled: 1-line block ×3, first 2 shown]
	v_mul_f64 v[154:155], v[110:111], v[15:16]
	v_mul_f64 v[156:157], v[108:109], v[15:16]
	;; [unrolled: 1-line block ×3, first 2 shown]
	v_fma_f64 v[50:51], v[50:51], v[44:45], v[120:121]
	v_mul_f64 v[160:161], v[112:113], v[11:12]
	v_fma_f64 v[120:121], v[54:55], v[26:27], v[124:125]
	v_fma_f64 v[54:55], v[84:85], v[36:37], v[140:141]
	;; [unrolled: 1-line block ×3, first 2 shown]
	v_fma_f64 v[108:109], v[108:109], v[13:14], -v[154:155]
	buffer_store_dword v13, off, s[64:67], 0 offset:64 ; 4-byte Folded Spill
	s_nop 0
	buffer_store_dword v14, off, s[64:67], 0 offset:68 ; 4-byte Folded Spill
	buffer_store_dword v15, off, s[64:67], 0 offset:72 ; 4-byte Folded Spill
	;; [unrolled: 1-line block ×3, first 2 shown]
	v_fma_f64 v[112:113], v[112:113], v[9:10], -v[158:159]
	buffer_store_dword v9, off, s[64:67], 0 offset:48 ; 4-byte Folded Spill
	s_nop 0
	buffer_store_dword v10, off, s[64:67], 0 offset:52 ; 4-byte Folded Spill
	buffer_store_dword v11, off, s[64:67], 0 offset:56 ; 4-byte Folded Spill
	;; [unrolled: 1-line block ×3, first 2 shown]
	v_add_f64 v[92:93], v[70:71], v[48:49]
	v_add_f64 v[104:105], v[72:73], v[50:51]
	v_fma_f64 v[124:125], v[66:67], v[30:31], v[128:129]
	v_mul_f64 v[134:135], v[80:81], v[42:43]
	v_mul_f64 v[136:137], v[78:79], v[42:43]
	v_add_f64 v[116:117], v[48:49], v[90:91]
	v_add_f64 v[48:49], v[48:49], -v[90:91]
	v_add_f64 v[126:127], v[94:95], v[112:113]
	v_add_f64 v[92:93], v[92:93], v[94:95]
	;; [unrolled: 1-line block ×3, first 2 shown]
	v_add_f64 v[94:95], v[94:95], -v[112:113]
	v_fma_f64 v[78:79], v[78:79], v[40:41], -v[134:135]
	v_fma_f64 v[80:81], v[80:81], v[40:41], v[136:137]
	v_mul_f64 v[136:137], v[48:49], s[30:31]
	v_mul_f64 v[140:141], v[48:49], s[38:39]
	v_add_f64 v[92:93], v[92:93], v[122:123]
	v_add_f64 v[104:105], v[104:105], v[124:125]
	v_mul_f64 v[148:149], v[48:49], s[26:27]
	v_mul_f64 v[154:155], v[94:95], s[30:31]
	; wave barrier
	v_add_f64 v[92:93], v[92:93], v[74:75]
	v_fma_f64 v[76:77], v[76:77], v[1:2], v[132:133]
	v_mul_f64 v[132:133], v[48:49], s[22:23]
	v_fma_f64 v[66:67], v[88:89], v[5:6], v[144:145]
	v_mul_f64 v[144:145], v[48:49], s[20:21]
	v_fma_f64 v[88:89], v[106:107], v[21:22], v[152:153]
	v_fma_f64 v[106:107], v[118:119], v[17:18], v[164:165]
	v_add_f64 v[104:105], v[104:105], v[76:77]
	v_add_f64 v[118:119], v[50:51], v[106:107]
	v_add_f64 v[50:51], v[50:51], -v[106:107]
	v_fma_f64 v[110:111], v[110:111], v[13:14], v[156:157]
	v_fma_f64 v[114:115], v[114:115], v[9:10], v[160:161]
	;; [unrolled: 1-line block ×3, first 2 shown]
	v_mul_f64 v[130:131], v[50:51], s[22:23]
	v_mul_f64 v[134:135], v[50:51], s[30:31]
	;; [unrolled: 1-line block ×6, first 2 shown]
	v_add_f64 v[50:51], v[92:93], v[78:79]
	v_add_f64 v[92:93], v[104:105], v[80:81]
	v_mul_f64 v[104:105], v[48:49], s[34:35]
	v_fma_f64 v[48:49], v[116:117], s[18:19], -v[130:131]
	v_add_f64 v[128:129], v[120:121], v[114:115]
	v_fma_f64 v[172:173], v[118:119], s[24:25], v[148:149]
	v_fma_f64 v[148:149], v[118:119], s[24:25], -v[148:149]
	v_add_f64 v[120:121], v[120:121], -v[114:115]
	v_add_f64 v[50:51], v[50:51], v[52:53]
	v_add_f64 v[92:93], v[92:93], v[54:55]
	v_fma_f64 v[130:131], v[116:117], s[18:19], v[130:131]
	v_add_f64 v[176:177], v[70:71], v[48:49]
	v_fma_f64 v[132:133], v[118:119], s[18:19], -v[132:133]
	v_fma_f64 v[158:159], v[116:117], s[10:11], -v[134:135]
	v_fma_f64 v[160:161], v[118:119], s[10:11], v[136:137]
	v_fma_f64 v[134:135], v[116:117], s[10:11], v[134:135]
	v_add_f64 v[50:51], v[50:51], v[64:65]
	v_add_f64 v[92:93], v[92:93], v[66:67]
	v_fma_f64 v[136:137], v[118:119], s[10:11], -v[136:137]
	v_fma_f64 v[162:163], v[116:117], s[2:3], -v[138:139]
	v_fma_f64 v[164:165], v[118:119], s[2:3], v[140:141]
	v_fma_f64 v[138:139], v[116:117], s[2:3], v[138:139]
	v_fma_f64 v[140:141], v[118:119], s[2:3], -v[140:141]
	v_fma_f64 v[166:167], v[116:117], s[16:17], -v[142:143]
	v_add_f64 v[50:51], v[50:51], v[82:83]
	v_add_f64 v[92:93], v[92:93], v[84:85]
	v_fma_f64 v[168:169], v[118:119], s[16:17], v[144:145]
	v_fma_f64 v[142:143], v[116:117], s[16:17], v[142:143]
	v_fma_f64 v[144:145], v[118:119], s[16:17], -v[144:145]
	v_fma_f64 v[170:171], v[116:117], s[24:25], -v[146:147]
	v_fma_f64 v[146:147], v[116:117], s[24:25], v[146:147]
	v_fma_f64 v[174:175], v[116:117], s[28:29], -v[150:151]
	v_add_f64 v[50:51], v[50:51], v[86:87]
	v_add_f64 v[92:93], v[92:93], v[88:89]
	;; [unrolled: 1-line block ×3, first 2 shown]
	v_mul_f64 v[152:153], v[120:121], s[30:31]
	v_add_f64 v[130:131], v[70:71], v[130:131]
	v_add_f64 v[132:133], v[72:73], v[132:133]
	;; [unrolled: 1-line block ×22, first 2 shown]
	v_fma_f64 v[90:91], v[118:119], s[28:29], v[104:105]
	v_fma_f64 v[106:107], v[116:117], s[28:29], v[150:151]
	v_fma_f64 v[104:105], v[118:119], s[28:29], -v[104:105]
	v_add_f64 v[118:119], v[72:73], v[148:149]
	v_fma_f64 v[148:149], v[128:129], s[10:11], v[154:155]
	v_add_f64 v[116:117], v[70:71], v[146:147]
	v_add_f64 v[150:151], v[70:71], v[174:175]
	v_fma_f64 v[146:147], v[126:127], s[10:11], -v[152:153]
	v_add_f64 v[90:91], v[72:73], v[90:91]
	v_add_f64 v[70:71], v[70:71], v[106:107]
	;; [unrolled: 1-line block ×3, first 2 shown]
	v_mul_f64 v[104:105], v[120:121], s[20:21]
	v_mul_f64 v[106:107], v[94:95], s[20:21]
	v_add_f64 v[148:149], v[148:149], v[156:157]
	v_mul_f64 v[156:157], v[120:121], s[34:35]
	v_mul_f64 v[168:169], v[94:95], s[34:35]
	v_fma_f64 v[152:153], v[126:127], s[10:11], v[152:153]
	v_add_f64 v[146:147], v[146:147], v[176:177]
	v_fma_f64 v[154:155], v[128:129], s[10:11], -v[154:155]
	v_fma_f64 v[170:171], v[126:127], s[16:17], -v[104:105]
	v_fma_f64 v[172:173], v[128:129], s[16:17], v[106:107]
	v_fma_f64 v[104:105], v[126:127], s[16:17], v[104:105]
	v_fma_f64 v[106:107], v[128:129], s[16:17], -v[106:107]
	v_fma_f64 v[174:175], v[126:127], s[28:29], -v[156:157]
	v_fma_f64 v[176:177], v[128:129], s[28:29], v[168:169]
	v_add_f64 v[130:131], v[152:153], v[130:131]
	v_add_f64 v[132:133], v[154:155], v[132:133]
	;; [unrolled: 1-line block ×3, first 2 shown]
	v_mul_f64 v[158:159], v[94:95], s[40:41]
	v_add_f64 v[92:93], v[104:105], v[92:93]
	v_add_f64 v[104:105], v[106:107], v[134:135]
	;; [unrolled: 1-line block ×3, first 2 shown]
	v_mul_f64 v[136:137], v[120:121], s[40:41]
	v_add_f64 v[154:155], v[172:173], v[160:161]
	v_add_f64 v[134:135], v[176:177], v[162:163]
	v_fma_f64 v[162:163], v[128:129], s[28:29], -v[168:169]
	v_fma_f64 v[172:173], v[128:129], s[24:25], v[158:159]
	v_fma_f64 v[158:159], v[128:129], s[24:25], -v[158:159]
	v_mul_f64 v[160:161], v[120:121], s[36:37]
	v_fma_f64 v[156:157], v[126:127], s[28:29], v[156:157]
	v_fma_f64 v[170:171], v[126:127], s[24:25], -v[136:137]
	v_fma_f64 v[136:137], v[126:127], s[24:25], v[136:137]
	v_mul_f64 v[168:169], v[94:95], s[36:37]
	v_add_f64 v[140:141], v[162:163], v[140:141]
	v_add_f64 v[162:163], v[122:123], -v[108:109]
	s_mov_b32 s23, 0x3fddbe06
	v_fma_f64 v[174:175], v[126:127], s[2:3], -v[160:161]
	v_add_f64 v[138:139], v[156:157], v[138:139]
	v_mul_f64 v[120:121], v[120:121], s[22:23]
	v_add_f64 v[136:137], v[136:137], v[142:143]
	v_add_f64 v[142:143], v[158:159], v[144:145]
	v_add_f64 v[158:159], v[124:125], -v[110:111]
	v_fma_f64 v[156:157], v[128:129], s[2:3], v[168:169]
	v_mul_f64 v[94:95], v[94:95], s[22:23]
	v_add_f64 v[108:109], v[122:123], v[108:109]
	v_add_f64 v[110:111], v[124:125], v[110:111]
	v_mul_f64 v[124:125], v[162:163], s[38:39]
	v_add_f64 v[144:145], v[174:175], v[164:165]
	v_fma_f64 v[160:161], v[126:127], s[2:3], v[160:161]
	v_mul_f64 v[122:123], v[158:159], s[38:39]
	v_add_f64 v[156:157], v[156:157], v[166:167]
	v_fma_f64 v[164:165], v[128:129], s[2:3], -v[168:169]
	v_fma_f64 v[166:167], v[126:127], s[18:19], -v[120:121]
	v_fma_f64 v[168:169], v[128:129], s[18:19], v[94:95]
	v_fma_f64 v[120:121], v[126:127], s[18:19], v[120:121]
	v_fma_f64 v[94:95], v[128:129], s[18:19], -v[94:95]
	v_fma_f64 v[128:129], v[110:111], s[2:3], v[124:125]
	v_fma_f64 v[126:127], v[108:109], s[2:3], -v[122:123]
	;; [unrolled: 2-line block ×3, first 2 shown]
	v_add_f64 v[116:117], v[160:161], v[116:117]
	v_add_f64 v[118:119], v[164:165], v[118:119]
	;; [unrolled: 1-line block ×6, first 2 shown]
	v_mul_f64 v[126:127], v[158:159], s[34:35]
	v_mul_f64 v[128:129], v[162:163], s[34:35]
	;; [unrolled: 1-line block ×4, first 2 shown]
	v_add_f64 v[122:123], v[122:123], v[130:131]
	v_add_f64 v[124:125], v[124:125], v[132:133]
	;; [unrolled: 1-line block ×4, first 2 shown]
	v_fma_f64 v[160:161], v[108:109], s[28:29], -v[126:127]
	v_fma_f64 v[164:165], v[110:111], s[28:29], v[128:129]
	v_fma_f64 v[126:127], v[108:109], s[28:29], v[126:127]
	v_fma_f64 v[128:129], v[110:111], s[28:29], -v[128:129]
	v_fma_f64 v[130:131], v[108:109], s[16:17], -v[146:147]
	v_fma_f64 v[132:133], v[110:111], s[16:17], v[148:149]
	v_add_f64 v[114:115], v[172:173], v[114:115]
	v_add_f64 v[90:91], v[168:169], v[90:91]
	;; [unrolled: 1-line block ×6, first 2 shown]
	v_mul_f64 v[126:127], v[158:159], s[22:23]
	v_mul_f64 v[128:129], v[162:163], s[22:23]
	v_add_f64 v[106:107], v[130:131], v[106:107]
	v_add_f64 v[130:131], v[132:133], v[134:135]
	v_fma_f64 v[132:133], v[108:109], s[16:17], v[146:147]
	v_fma_f64 v[134:135], v[110:111], s[16:17], -v[148:149]
	v_mul_f64 v[146:147], v[158:159], s[30:31]
	v_mul_f64 v[148:149], v[162:163], s[30:31]
	v_fma_f64 v[160:161], v[108:109], s[18:19], -v[126:127]
	v_fma_f64 v[164:165], v[110:111], s[18:19], v[128:129]
	v_fma_f64 v[126:127], v[108:109], s[18:19], v[126:127]
	v_fma_f64 v[128:129], v[110:111], s[18:19], -v[128:129]
	v_add_f64 v[132:133], v[132:133], v[138:139]
	v_add_f64 v[134:135], v[134:135], v[140:141]
	v_fma_f64 v[138:139], v[108:109], s[10:11], -v[146:147]
	v_fma_f64 v[140:141], v[110:111], s[10:11], v[148:149]
	v_add_f64 v[112:113], v[160:161], v[112:113]
	v_fma_f64 v[146:147], v[108:109], s[10:11], v[146:147]
	v_add_f64 v[126:127], v[126:127], v[136:137]
	v_add_f64 v[128:129], v[128:129], v[142:143]
	v_mul_f64 v[136:137], v[158:159], s[26:27]
	v_mul_f64 v[142:143], v[162:163], s[26:27]
	v_add_f64 v[138:139], v[138:139], v[144:145]
	v_add_f64 v[140:141], v[140:141], v[156:157]
	v_add_f64 v[144:145], v[76:77], -v[88:89]
	v_add_f64 v[156:157], v[74:75], -v[86:87]
	v_fma_f64 v[148:149], v[110:111], s[10:11], -v[148:149]
	v_add_f64 v[74:75], v[74:75], v[86:87]
	v_fma_f64 v[158:159], v[108:109], s[24:25], -v[136:137]
	v_fma_f64 v[160:161], v[110:111], s[24:25], v[142:143]
	v_add_f64 v[76:77], v[76:77], v[88:89]
	v_fma_f64 v[108:109], v[108:109], s[24:25], v[136:137]
	v_mul_f64 v[86:87], v[144:145], s[20:21]
	v_mul_f64 v[88:89], v[156:157], s[20:21]
	v_fma_f64 v[110:111], v[110:111], s[24:25], -v[142:143]
	v_add_f64 v[116:117], v[146:147], v[116:117]
	v_add_f64 v[118:119], v[148:149], v[118:119]
	v_add_f64 v[136:137], v[158:159], v[150:151]
	v_add_f64 v[114:115], v[164:165], v[114:115]
	v_add_f64 v[70:71], v[108:109], v[70:71]
	v_fma_f64 v[142:143], v[74:75], s[16:17], -v[86:87]
	v_fma_f64 v[146:147], v[76:77], s[16:17], v[88:89]
	v_add_f64 v[72:73], v[110:111], v[72:73]
	v_mul_f64 v[108:109], v[144:145], s[40:41]
	v_mul_f64 v[110:111], v[156:157], s[40:41]
	v_fma_f64 v[86:87], v[74:75], s[16:17], v[86:87]
	v_fma_f64 v[88:89], v[76:77], s[16:17], -v[88:89]
	s_mov_b32 s41, 0x3fcea1e5
	v_add_f64 v[94:95], v[142:143], v[94:95]
	v_add_f64 v[120:121], v[146:147], v[120:121]
	v_mul_f64 v[142:143], v[144:145], s[22:23]
	v_mul_f64 v[146:147], v[156:157], s[22:23]
	v_fma_f64 v[148:149], v[74:75], s[24:25], -v[108:109]
	v_fma_f64 v[150:151], v[76:77], s[24:25], v[110:111]
	v_add_f64 v[86:87], v[86:87], v[122:123]
	v_add_f64 v[88:89], v[88:89], v[124:125]
	v_fma_f64 v[108:109], v[74:75], s[24:25], v[108:109]
	v_fma_f64 v[110:111], v[76:77], s[24:25], -v[110:111]
	v_fma_f64 v[122:123], v[74:75], s[18:19], -v[142:143]
	v_fma_f64 v[124:125], v[76:77], s[18:19], v[146:147]
	v_add_f64 v[148:149], v[148:149], v[152:153]
	v_add_f64 v[150:151], v[150:151], v[154:155]
	v_mul_f64 v[152:153], v[144:145], s[38:39]
	v_mul_f64 v[154:155], v[156:157], s[38:39]
	s_mov_b32 s40, s34
	v_add_f64 v[92:93], v[108:109], v[92:93]
	v_add_f64 v[104:105], v[110:111], v[104:105]
	;; [unrolled: 1-line block ×4, first 2 shown]
	v_fma_f64 v[110:111], v[74:75], s[18:19], v[142:143]
	v_fma_f64 v[122:123], v[76:77], s[18:19], -v[146:147]
	v_fma_f64 v[124:125], v[74:75], s[2:3], -v[152:153]
	v_fma_f64 v[130:131], v[76:77], s[2:3], v[154:155]
	v_mul_f64 v[142:143], v[144:145], s[40:41]
	v_mul_f64 v[146:147], v[156:157], s[40:41]
	s_mov_b32 s39, 0x3fea55e2
	s_mov_b32 s38, s30
	v_fma_f64 v[152:153], v[74:75], s[2:3], v[152:153]
	v_add_f64 v[110:111], v[110:111], v[132:133]
	v_add_f64 v[112:113], v[124:125], v[112:113]
	;; [unrolled: 1-line block ×3, first 2 shown]
	v_fma_f64 v[124:125], v[74:75], s[28:29], -v[142:143]
	v_fma_f64 v[130:131], v[76:77], s[28:29], v[146:147]
	v_add_f64 v[122:123], v[122:123], v[134:135]
	v_mul_f64 v[132:133], v[144:145], s[38:39]
	v_mul_f64 v[134:135], v[156:157], s[38:39]
	v_fma_f64 v[154:155], v[76:77], s[2:3], -v[154:155]
	v_add_f64 v[126:127], v[152:153], v[126:127]
	v_fma_f64 v[142:143], v[74:75], s[28:29], v[142:143]
	v_add_f64 v[124:125], v[124:125], v[138:139]
	v_add_f64 v[130:131], v[130:131], v[140:141]
	v_add_f64 v[138:139], v[80:81], -v[84:85]
	v_add_f64 v[140:141], v[78:79], -v[82:83]
	v_fma_f64 v[144:145], v[76:77], s[28:29], -v[146:147]
	v_fma_f64 v[146:147], v[74:75], s[10:11], -v[132:133]
	v_fma_f64 v[152:153], v[76:77], s[10:11], v[134:135]
	v_add_f64 v[78:79], v[78:79], v[82:83]
	v_add_f64 v[80:81], v[80:81], v[84:85]
	v_fma_f64 v[74:75], v[74:75], s[10:11], v[132:133]
	v_mul_f64 v[82:83], v[138:139], s[26:27]
	v_mul_f64 v[84:85], v[140:141], s[26:27]
	v_fma_f64 v[76:77], v[76:77], s[10:11], -v[134:135]
	v_add_f64 v[132:133], v[146:147], v[136:137]
	v_add_f64 v[116:117], v[142:143], v[116:117]
	;; [unrolled: 1-line block ×5, first 2 shown]
	v_fma_f64 v[134:135], v[78:79], s[24:25], -v[82:83]
	v_fma_f64 v[136:137], v[80:81], s[24:25], v[84:85]
	v_add_f64 v[72:73], v[76:77], v[72:73]
	v_mul_f64 v[74:75], v[138:139], s[36:37]
	v_mul_f64 v[76:77], v[140:141], s[36:37]
	v_fma_f64 v[82:83], v[78:79], s[24:25], v[82:83]
	v_fma_f64 v[84:85], v[80:81], s[24:25], -v[84:85]
	v_add_f64 v[90:91], v[160:161], v[90:91]
	v_add_f64 v[94:95], v[134:135], v[94:95]
	;; [unrolled: 1-line block ×3, first 2 shown]
	v_mul_f64 v[134:135], v[138:139], s[30:31]
	v_mul_f64 v[136:137], v[140:141], s[30:31]
	v_fma_f64 v[142:143], v[78:79], s[2:3], -v[74:75]
	v_fma_f64 v[144:145], v[80:81], s[2:3], v[76:77]
	v_fma_f64 v[74:75], v[78:79], s[2:3], v[74:75]
	v_add_f64 v[82:83], v[82:83], v[86:87]
	v_add_f64 v[84:85], v[84:85], v[88:89]
	v_fma_f64 v[76:77], v[80:81], s[2:3], -v[76:77]
	v_fma_f64 v[86:87], v[78:79], s[10:11], -v[134:135]
	v_fma_f64 v[88:89], v[80:81], s[10:11], v[136:137]
	v_add_f64 v[146:147], v[142:143], v[148:149]
	v_add_f64 v[148:149], v[144:145], v[150:151]
	v_mul_f64 v[142:143], v[138:139], s[40:41]
	v_mul_f64 v[144:145], v[140:141], s[40:41]
	v_add_f64 v[74:75], v[74:75], v[92:93]
	v_fma_f64 v[92:93], v[78:79], s[10:11], v[134:135]
	v_mul_f64 v[134:135], v[138:139], s[22:23]
	v_add_f64 v[76:77], v[76:77], v[104:105]
	v_add_f64 v[86:87], v[86:87], v[106:107]
	;; [unrolled: 1-line block ×3, first 2 shown]
	v_fma_f64 v[104:105], v[80:81], s[10:11], -v[136:137]
	v_fma_f64 v[106:107], v[78:79], s[28:29], -v[142:143]
	v_fma_f64 v[108:109], v[80:81], s[28:29], v[144:145]
	v_mul_f64 v[136:137], v[140:141], s[22:23]
	v_fma_f64 v[144:145], v[80:81], s[28:29], -v[144:145]
	v_add_f64 v[92:93], v[92:93], v[110:111]
	v_fma_f64 v[110:111], v[78:79], s[18:19], -v[134:135]
	v_fma_f64 v[142:143], v[78:79], s[28:29], v[142:143]
	v_add_f64 v[104:105], v[104:105], v[122:123]
	v_add_f64 v[106:107], v[106:107], v[112:113]
	;; [unrolled: 1-line block ×3, first 2 shown]
	v_fma_f64 v[112:113], v[80:81], s[18:19], v[136:137]
	v_add_f64 v[122:123], v[144:145], v[128:129]
	v_fma_f64 v[128:129], v[80:81], s[18:19], -v[136:137]
	v_mul_f64 v[136:137], v[140:141], s[20:21]
	v_add_f64 v[110:111], v[110:111], v[124:125]
	v_add_f64 v[124:125], v[54:55], -v[66:67]
	v_add_f64 v[108:109], v[108:109], v[114:115]
	v_add_f64 v[114:115], v[142:143], v[126:127]
	v_fma_f64 v[126:127], v[78:79], s[18:19], v[134:135]
	v_mul_f64 v[134:135], v[138:139], s[20:21]
	v_add_f64 v[112:113], v[112:113], v[130:131]
	v_add_f64 v[130:131], v[52:53], -v[64:65]
	v_add_f64 v[118:119], v[128:129], v[118:119]
	v_fma_f64 v[128:129], v[80:81], s[16:17], v[136:137]
	v_add_f64 v[138:139], v[52:53], v[64:65]
	v_mul_f64 v[52:53], v[124:125], s[34:35]
	v_add_f64 v[116:117], v[126:127], v[116:117]
	v_fma_f64 v[126:127], v[78:79], s[16:17], -v[134:135]
	v_add_f64 v[140:141], v[54:55], v[66:67]
	v_mul_f64 v[54:55], v[130:131], s[34:35]
	v_fma_f64 v[64:65], v[78:79], s[16:17], v[134:135]
	v_fma_f64 v[66:67], v[80:81], s[16:17], -v[136:137]
	v_add_f64 v[128:129], v[128:129], v[90:91]
	v_mul_f64 v[78:79], v[124:125], s[22:23]
	v_mul_f64 v[80:81], v[130:131], s[22:23]
	v_fma_f64 v[90:91], v[138:139], s[28:29], -v[52:53]
	v_add_f64 v[126:127], v[126:127], v[132:133]
	v_fma_f64 v[132:133], v[140:141], s[28:29], v[54:55]
	v_add_f64 v[134:135], v[64:65], v[70:71]
	v_add_f64 v[136:137], v[66:67], v[72:73]
	v_fma_f64 v[64:65], v[138:139], s[28:29], v[52:53]
	v_fma_f64 v[66:67], v[140:141], s[28:29], -v[54:55]
	v_fma_f64 v[70:71], v[138:139], s[18:19], -v[78:79]
	v_fma_f64 v[72:73], v[140:141], s[18:19], v[80:81]
	v_add_f64 v[52:53], v[90:91], v[94:95]
	v_mul_f64 v[90:91], v[124:125], s[26:27]
	v_mul_f64 v[94:95], v[130:131], s[26:27]
	v_add_f64 v[54:55], v[132:133], v[120:121]
	v_add_f64 v[142:143], v[64:65], v[82:83]
	;; [unrolled: 1-line block ×5, first 2 shown]
	v_fma_f64 v[70:71], v[138:139], s[18:19], v[78:79]
	v_fma_f64 v[72:73], v[140:141], s[18:19], -v[80:81]
	v_fma_f64 v[78:79], v[138:139], s[24:25], -v[90:91]
	v_fma_f64 v[80:81], v[140:141], s[24:25], v[94:95]
	v_mul_f64 v[82:83], v[124:125], s[38:39]
	v_mul_f64 v[84:85], v[130:131], s[38:39]
	v_fma_f64 v[90:91], v[138:139], s[24:25], v[90:91]
	v_fma_f64 v[94:95], v[140:141], s[24:25], -v[94:95]
	v_add_f64 v[70:71], v[70:71], v[74:75]
	v_add_f64 v[72:73], v[72:73], v[76:77]
	;; [unrolled: 1-line block ×4, first 2 shown]
	v_fma_f64 v[86:87], v[138:139], s[10:11], -v[82:83]
	v_fma_f64 v[88:89], v[140:141], s[10:11], v[84:85]
	v_add_f64 v[78:79], v[90:91], v[92:93]
	v_add_f64 v[80:81], v[94:95], v[104:105]
	v_fma_f64 v[90:91], v[138:139], s[10:11], v[82:83]
	v_fma_f64 v[92:93], v[140:141], s[10:11], -v[84:85]
	v_mul_f64 v[94:95], v[124:125], s[20:21]
	v_mul_f64 v[104:105], v[130:131], s[20:21]
	v_add_f64 v[82:83], v[86:87], v[106:107]
	v_add_f64 v[84:85], v[88:89], v[108:109]
	v_mul_f64 v[106:107], v[124:125], s[36:37]
	v_mul_f64 v[108:109], v[130:131], s[36:37]
	v_add_f64 v[86:87], v[90:91], v[114:115]
	v_add_f64 v[88:89], v[92:93], v[122:123]
	v_fma_f64 v[90:91], v[138:139], s[16:17], -v[94:95]
	v_fma_f64 v[92:93], v[140:141], s[16:17], v[104:105]
	v_fma_f64 v[94:95], v[138:139], s[16:17], v[94:95]
	v_fma_f64 v[114:115], v[140:141], s[16:17], -v[104:105]
	v_fma_f64 v[120:121], v[138:139], s[2:3], -v[106:107]
	v_fma_f64 v[122:123], v[140:141], s[2:3], v[108:109]
	v_fma_f64 v[124:125], v[138:139], s[2:3], v[106:107]
	v_fma_f64 v[130:131], v[140:141], s[2:3], -v[108:109]
	v_add_f64 v[90:91], v[90:91], v[110:111]
	v_add_f64 v[92:93], v[92:93], v[112:113]
	;; [unrolled: 1-line block ×8, first 2 shown]
	ds_write_b128 v192, v[48:51]
	ds_write_b128 v192, v[52:55] offset:272
	ds_write_b128 v192, v[64:67] offset:544
	;; [unrolled: 1-line block ×12, first 2 shown]
	s_waitcnt lgkmcnt(0)
	; wave barrier
	s_waitcnt lgkmcnt(0)
	ds_read_b128 v[108:111], v255
	ds_read_b128 v[104:107], v255 offset:816
	ds_read_b128 v[146:149], v255 offset:3536
	;; [unrolled: 1-line block ×11, first 2 shown]
	v_cmp_gt_u16_e64 s[2:3], 17, v198
	s_and_saveexec_b64 s[10:11], s[2:3]
	s_cbranch_execz .LBB0_9
; %bb.8:
	ds_read_b128 v[142:145], v255 offset:3264
	ds_read_b128 v[100:103], v255 offset:6800
	;; [unrolled: 1-line block ×3, first 2 shown]
.LBB0_9:
	s_or_b64 exec, exec, s[10:11]
	v_lshlrev_b32_e32 v0, 5, v198
	v_add_co_u32_e32 v1, vcc, 0xcc, v198
	v_addc_co_u32_e64 v2, s[10:11], 0, 0, vcc
	v_add_u32_e32 v3, 0x660, v0
	global_load_dwordx4 v[8:11], v0, s[8:9] offset:3280
	global_load_dwordx4 v[68:71], v0, s[8:9] offset:3264
	global_load_dwordx4 v[72:75], v3, s[8:9] offset:3280
	global_load_dwordx4 v[80:83], v3, s[8:9] offset:3264
	v_add_u32_e32 v3, 0xcc0, v0
	v_add_u32_e32 v0, 0x1320, v0
	s_movk_i32 s10, 0xffef
	global_load_dwordx4 v[76:79], v3, s[8:9] offset:3280
	global_load_dwordx4 v[88:91], v3, s[8:9] offset:3264
	;; [unrolled: 1-line block ×4, first 2 shown]
	v_add_co_u32_e32 v0, vcc, s10, v198
	v_addc_co_u32_e64 v3, s[10:11], 0, -1, vcc
	v_cndmask_b32_e64 v49, v3, v2, s[2:3]
	v_cndmask_b32_e64 v48, v0, v1, s[2:3]
	v_lshlrev_b64 v[48:49], 5, v[48:49]
	v_mov_b32_e32 v0, s9
	v_add_co_u32_e32 v48, vcc, s8, v48
	v_addc_co_u32_e32 v49, vcc, v0, v49, vcc
	global_load_dwordx4 v[4:7], v[48:49], off offset:3264
	global_load_dwordx4 v[0:3], v[48:49], off offset:3280
	s_mov_b32 s8, 0xe8584caa
	s_mov_b32 s9, 0x3febb67a
	;; [unrolled: 1-line block ×4, first 2 shown]
	s_waitcnt vmcnt(9) lgkmcnt(7)
	v_mul_f64 v[52:53], v[152:153], v[10:11]
	v_mul_f64 v[54:55], v[150:151], v[10:11]
	s_waitcnt vmcnt(6)
	v_mul_f64 v[112:113], v[120:121], v[82:83]
	v_mul_f64 v[130:131], v[118:119], v[82:83]
	s_waitcnt lgkmcnt(6)
	v_mul_f64 v[140:141], v[124:125], v[74:75]
	v_mul_f64 v[162:163], v[122:123], v[74:75]
	s_waitcnt vmcnt(4) lgkmcnt(3)
	v_mul_f64 v[164:165], v[156:157], v[90:91]
	s_waitcnt lgkmcnt(1)
	v_mul_f64 v[168:169], v[160:161], v[78:79]
	v_fma_f64 v[52:53], v[150:151], v[8:9], -v[52:53]
	buffer_store_dword v8, off, s[64:67], 0 offset:112 ; 4-byte Folded Spill
	s_nop 0
	buffer_store_dword v9, off, s[64:67], 0 offset:116 ; 4-byte Folded Spill
	buffer_store_dword v10, off, s[64:67], 0 offset:120 ; 4-byte Folded Spill
	;; [unrolled: 1-line block ×3, first 2 shown]
	v_mul_f64 v[166:167], v[154:155], v[90:91]
	v_mul_f64 v[170:171], v[158:159], v[78:79]
	v_fma_f64 v[112:113], v[118:119], v[80:81], -v[112:113]
	v_fma_f64 v[118:119], v[120:121], v[80:81], v[130:131]
	v_fma_f64 v[120:121], v[122:123], v[72:73], -v[140:141]
	v_fma_f64 v[122:123], v[124:125], v[72:73], v[162:163]
	v_fma_f64 v[124:125], v[154:155], v[88:89], -v[164:165]
	v_fma_f64 v[140:141], v[158:159], v[76:77], -v[168:169]
	v_mul_f64 v[48:49], v[148:149], v[70:71]
	s_waitcnt vmcnt(5)
	v_mul_f64 v[188:189], v[102:103], v[6:7]
	s_waitcnt vmcnt(4) lgkmcnt(0)
	v_mul_f64 v[193:194], v[98:99], v[2:3]
	v_mul_f64 v[190:191], v[100:101], v[6:7]
	;; [unrolled: 1-line block ×6, first 2 shown]
	v_fma_f64 v[48:49], v[146:147], v[68:69], -v[48:49]
	v_fma_f64 v[154:155], v[100:101], v[4:5], -v[188:189]
	buffer_store_dword v4, off, s[64:67], 0 offset:160 ; 4-byte Folded Spill
	s_nop 0
	buffer_store_dword v5, off, s[64:67], 0 offset:164 ; 4-byte Folded Spill
	buffer_store_dword v6, off, s[64:67], 0 offset:168 ; 4-byte Folded Spill
	;; [unrolled: 1-line block ×3, first 2 shown]
	v_fma_f64 v[158:159], v[96:97], v[0:1], -v[193:194]
	buffer_store_dword v0, off, s[64:67], 0 offset:144 ; 4-byte Folded Spill
	s_nop 0
	buffer_store_dword v1, off, s[64:67], 0 offset:148 ; 4-byte Folded Spill
	buffer_store_dword v2, off, s[64:67], 0 offset:152 ; 4-byte Folded Spill
	;; [unrolled: 1-line block ×3, first 2 shown]
	v_fma_f64 v[50:51], v[148:149], v[68:69], v[50:51]
	v_mul_f64 v[174:175], v[126:127], v[94:95]
	v_mul_f64 v[186:187], v[136:137], v[86:87]
	v_fma_f64 v[146:147], v[160:161], v[76:77], v[170:171]
	v_fma_f64 v[148:149], v[126:127], v[92:93], -v[172:173]
	v_add_f64 v[96:97], v[108:109], v[48:49]
	v_fma_f64 v[130:131], v[156:157], v[88:89], v[166:167]
	v_add_f64 v[162:163], v[106:107], v[118:119]
	v_add_f64 v[100:101], v[110:111], v[50:51]
	v_fma_f64 v[150:151], v[128:129], v[92:93], v[174:175]
	v_fma_f64 v[138:139], v[138:139], v[84:85], v[186:187]
	v_add_f64 v[128:129], v[112:113], v[120:121]
	v_add_f64 v[164:165], v[112:113], -v[120:121]
	v_add_f64 v[96:97], v[96:97], v[52:53]
	v_add_f64 v[166:167], v[124:125], v[140:141]
	v_add_f64 v[168:169], v[130:131], -v[146:147]
	v_add_f64 v[170:171], v[116:117], v[130:131]
	v_add_f64 v[130:131], v[130:131], v[146:147]
	v_add_f64 v[172:173], v[124:125], -v[140:141]
	v_fma_f64 v[130:131], v[130:131], -0.5, v[116:117]
	v_fma_f64 v[54:55], v[152:153], v[8:9], v[54:55]
	v_fma_f64 v[152:153], v[136:137], v[84:85], -v[184:185]
	v_add_f64 v[136:137], v[118:119], -v[122:123]
	v_add_f64 v[118:119], v[118:119], v[122:123]
	v_add_f64 v[126:127], v[50:51], -v[54:55]
	v_add_f64 v[50:51], v[50:51], v[54:55]
	v_add_f64 v[174:175], v[148:149], v[152:153]
	v_fma_f64 v[50:51], v[50:51], -0.5, v[110:111]
	v_fma_f64 v[156:157], v[102:103], v[4:5], v[190:191]
	v_add_f64 v[102:103], v[104:105], v[112:113]
	v_fma_f64 v[160:161], v[98:99], v[0:1], v[195:196]
	v_add_f64 v[98:99], v[48:49], v[52:53]
	v_add_f64 v[48:49], v[48:49], -v[52:53]
	v_add_f64 v[112:113], v[114:115], v[124:125]
	v_fma_f64 v[114:115], v[166:167], -0.5, v[114:115]
	v_fma_f64 v[52:53], v[98:99], -0.5, v[108:109]
	v_add_f64 v[98:99], v[100:101], v[54:55]
	v_add_f64 v[100:101], v[102:103], v[120:121]
	v_fma_f64 v[54:55], v[128:129], -0.5, v[104:105]
	v_add_f64 v[102:103], v[162:163], v[122:123]
	v_fma_f64 v[122:123], v[118:119], -0.5, v[106:107]
	v_fma_f64 v[106:107], v[48:49], s[10:11], v[50:51]
	v_fma_f64 v[110:111], v[48:49], s[8:9], v[50:51]
	;; [unrolled: 1-line block ×4, first 2 shown]
	v_add_f64 v[48:49], v[132:133], v[148:149]
	v_fma_f64 v[50:51], v[174:175], -0.5, v[132:133]
	v_add_f64 v[52:53], v[150:151], -v[138:139]
	v_add_f64 v[112:113], v[112:113], v[140:141]
	v_fma_f64 v[116:117], v[136:137], s[8:9], v[54:55]
	v_fma_f64 v[120:121], v[136:137], s[10:11], v[54:55]
	v_add_f64 v[54:55], v[150:151], v[138:139]
	v_fma_f64 v[124:125], v[168:169], s[8:9], v[114:115]
	v_add_f64 v[132:133], v[48:49], v[152:153]
	v_add_f64 v[48:49], v[154:155], v[158:159]
	v_fma_f64 v[136:137], v[52:53], s[8:9], v[50:51]
	v_fma_f64 v[140:141], v[52:53], s[10:11], v[50:51]
	v_add_f64 v[50:51], v[156:157], v[160:161]
	v_fma_f64 v[128:129], v[168:169], s[10:11], v[114:115]
	v_add_f64 v[114:115], v[170:171], v[146:147]
	v_add_f64 v[52:53], v[134:135], v[150:151]
	v_fma_f64 v[54:55], v[54:55], -0.5, v[134:135]
	v_add_f64 v[146:147], v[148:149], -v[152:153]
	v_add_f64 v[148:149], v[142:143], v[154:155]
	v_fma_f64 v[48:49], v[48:49], -0.5, v[142:143]
	v_add_f64 v[150:151], v[156:157], -v[160:161]
	;; [unrolled: 3-line block ×3, first 2 shown]
	v_fma_f64 v[118:119], v[164:165], s[10:11], v[122:123]
	v_fma_f64 v[122:123], v[164:165], s[8:9], v[122:123]
	;; [unrolled: 1-line block ×4, first 2 shown]
	v_add_f64 v[134:135], v[52:53], v[138:139]
	v_fma_f64 v[138:139], v[146:147], s[10:11], v[54:55]
	v_fma_f64 v[142:143], v[146:147], s[8:9], v[54:55]
	v_add_f64 v[144:145], v[148:149], v[158:159]
	v_fma_f64 v[148:149], v[150:151], s[8:9], v[48:49]
	v_fma_f64 v[152:153], v[150:151], s[10:11], v[48:49]
	;; [unrolled: 3-line block ×3, first 2 shown]
	ds_write_b128 v255, v[96:99]
	ds_write_b128 v255, v[104:107] offset:3536
	ds_write_b128 v255, v[108:111] offset:7072
	;; [unrolled: 1-line block ×11, first 2 shown]
	s_and_saveexec_b64 s[8:9], s[2:3]
	s_cbranch_execz .LBB0_11
; %bb.10:
	ds_write_b128 v255, v[144:147] offset:3264
	ds_write_b128 v255, v[148:151] offset:6800
	ds_write_b128 v255, v[152:155] offset:10336
.LBB0_11:
	s_or_b64 exec, exec, s[8:9]
	s_waitcnt lgkmcnt(0)
	; wave barrier
	s_waitcnt lgkmcnt(0)
	s_and_saveexec_b64 s[8:9], s[0:1]
	s_cbranch_execz .LBB0_13
; %bb.12:
	v_add_co_u32_e32 v156, vcc, s12, v255
	v_mov_b32_e32 v0, s13
	v_addc_co_u32_e32 v157, vcc, 0, v0, vcc
	v_add_co_u32_e32 v48, vcc, 0x2970, v156
	v_addc_co_u32_e32 v49, vcc, 0, v157, vcc
	v_add_co_u32_e32 v50, vcc, 0x2000, v156
	v_addc_co_u32_e32 v51, vcc, 0, v157, vcc
	global_load_dwordx4 v[162:165], v[50:51], off offset:2416
	ds_read_b128 v[158:161], v255
	s_movk_i32 s10, 0x3000
	s_waitcnt vmcnt(0) lgkmcnt(0)
	v_mul_f64 v[50:51], v[160:161], v[164:165]
	v_fma_f64 v[166:167], v[158:159], v[162:163], -v[50:51]
	v_mul_f64 v[50:51], v[158:159], v[164:165]
	v_fma_f64 v[168:169], v[160:161], v[162:163], v[50:51]
	global_load_dwordx4 v[162:165], v[48:49], off offset:624
	ds_read_b128 v[158:161], v255 offset:624
	ds_write_b128 v255, v[166:169]
	s_waitcnt vmcnt(0) lgkmcnt(1)
	v_mul_f64 v[50:51], v[160:161], v[164:165]
	v_fma_f64 v[166:167], v[158:159], v[162:163], -v[50:51]
	v_mul_f64 v[50:51], v[158:159], v[164:165]
	v_fma_f64 v[168:169], v[160:161], v[162:163], v[50:51]
	global_load_dwordx4 v[162:165], v[48:49], off offset:1248
	ds_read_b128 v[158:161], v255 offset:1248
	ds_write_b128 v255, v[166:169] offset:624
	s_waitcnt vmcnt(0) lgkmcnt(1)
	v_mul_f64 v[50:51], v[160:161], v[164:165]
	v_fma_f64 v[166:167], v[158:159], v[162:163], -v[50:51]
	v_mul_f64 v[50:51], v[158:159], v[164:165]
	v_fma_f64 v[168:169], v[160:161], v[162:163], v[50:51]
	global_load_dwordx4 v[162:165], v[48:49], off offset:1872
	ds_read_b128 v[158:161], v255 offset:1872
	ds_write_b128 v255, v[166:169] offset:1248
	;; [unrolled: 8-line block ×5, first 2 shown]
	s_waitcnt vmcnt(0) lgkmcnt(1)
	v_mul_f64 v[48:49], v[160:161], v[164:165]
	v_fma_f64 v[166:167], v[158:159], v[162:163], -v[48:49]
	v_mul_f64 v[48:49], v[158:159], v[164:165]
	v_fma_f64 v[168:169], v[160:161], v[162:163], v[48:49]
	v_add_co_u32_e32 v48, vcc, s10, v156
	v_addc_co_u32_e32 v49, vcc, 0, v157, vcc
	global_load_dwordx4 v[162:165], v[48:49], off offset:2688
	ds_read_b128 v[158:161], v255 offset:4368
	s_movk_i32 s10, 0x4000
	ds_write_b128 v255, v[166:169] offset:3744
	s_waitcnt vmcnt(0) lgkmcnt(1)
	v_mul_f64 v[50:51], v[160:161], v[164:165]
	v_fma_f64 v[166:167], v[158:159], v[162:163], -v[50:51]
	v_mul_f64 v[50:51], v[158:159], v[164:165]
	v_fma_f64 v[168:169], v[160:161], v[162:163], v[50:51]
	global_load_dwordx4 v[162:165], v[48:49], off offset:3312
	ds_read_b128 v[158:161], v255 offset:4992
	ds_write_b128 v255, v[166:169] offset:4368
	s_waitcnt vmcnt(0) lgkmcnt(1)
	v_mul_f64 v[50:51], v[160:161], v[164:165]
	v_fma_f64 v[166:167], v[158:159], v[162:163], -v[50:51]
	v_mul_f64 v[50:51], v[158:159], v[164:165]
	v_fma_f64 v[168:169], v[160:161], v[162:163], v[50:51]
	global_load_dwordx4 v[162:165], v[48:49], off offset:3936
	ds_read_b128 v[158:161], v255 offset:5616
	ds_write_b128 v255, v[166:169] offset:4992
	s_waitcnt vmcnt(0) lgkmcnt(1)
	v_mul_f64 v[48:49], v[160:161], v[164:165]
	v_fma_f64 v[166:167], v[158:159], v[162:163], -v[48:49]
	v_mul_f64 v[48:49], v[158:159], v[164:165]
	v_fma_f64 v[168:169], v[160:161], v[162:163], v[48:49]
	v_add_co_u32_e32 v48, vcc, s10, v156
	v_addc_co_u32_e32 v49, vcc, 0, v157, vcc
	global_load_dwordx4 v[162:165], v[48:49], off offset:464
	ds_read_b128 v[158:161], v255 offset:6240
	s_movk_i32 s10, 0x5000
	ds_write_b128 v255, v[166:169] offset:5616
	s_waitcnt vmcnt(0) lgkmcnt(1)
	v_mul_f64 v[50:51], v[160:161], v[164:165]
	v_fma_f64 v[166:167], v[158:159], v[162:163], -v[50:51]
	v_mul_f64 v[50:51], v[158:159], v[164:165]
	v_fma_f64 v[168:169], v[160:161], v[162:163], v[50:51]
	global_load_dwordx4 v[162:165], v[48:49], off offset:1088
	ds_read_b128 v[158:161], v255 offset:6864
	ds_write_b128 v255, v[166:169] offset:6240
	s_waitcnt vmcnt(0) lgkmcnt(1)
	v_mul_f64 v[50:51], v[160:161], v[164:165]
	v_fma_f64 v[166:167], v[158:159], v[162:163], -v[50:51]
	v_mul_f64 v[50:51], v[158:159], v[164:165]
	v_fma_f64 v[168:169], v[160:161], v[162:163], v[50:51]
	global_load_dwordx4 v[162:165], v[48:49], off offset:1712
	ds_read_b128 v[158:161], v255 offset:7488
	;; [unrolled: 8-line block ×5, first 2 shown]
	ds_write_b128 v255, v[166:169] offset:8736
	s_waitcnt vmcnt(0) lgkmcnt(1)
	v_mul_f64 v[48:49], v[160:161], v[164:165]
	v_fma_f64 v[166:167], v[158:159], v[162:163], -v[48:49]
	v_mul_f64 v[48:49], v[158:159], v[164:165]
	v_fma_f64 v[168:169], v[160:161], v[162:163], v[48:49]
	v_add_co_u32_e32 v48, vcc, s10, v156
	v_addc_co_u32_e32 v49, vcc, 0, v157, vcc
	global_load_dwordx4 v[162:165], v[48:49], off offset:112
	ds_read_b128 v[158:161], v255 offset:9984
	ds_write_b128 v255, v[166:169] offset:9360
	s_waitcnt vmcnt(0) lgkmcnt(1)
	v_mul_f64 v[48:49], v[160:161], v[164:165]
	v_fma_f64 v[156:157], v[158:159], v[162:163], -v[48:49]
	v_mul_f64 v[48:49], v[158:159], v[164:165]
	v_fma_f64 v[158:159], v[160:161], v[162:163], v[48:49]
	ds_write_b128 v255, v[156:159] offset:9984
.LBB0_13:
	s_or_b64 exec, exec, s[8:9]
	s_waitcnt lgkmcnt(0)
	; wave barrier
	s_waitcnt lgkmcnt(0)
	s_and_saveexec_b64 s[8:9], s[0:1]
	s_cbranch_execz .LBB0_15
; %bb.14:
	ds_read_b128 v[96:99], v255
	ds_read_b128 v[104:107], v255 offset:624
	ds_read_b128 v[108:111], v255 offset:1248
	;; [unrolled: 1-line block ×16, first 2 shown]
.LBB0_15:
	s_or_b64 exec, exec, s[8:9]
	s_waitcnt lgkmcnt(0)
	v_add_f64 v[4:5], v[106:107], -v[201:202]
	s_mov_b32 s10, 0x7c9e640b
	s_mov_b32 s11, 0xbfeca52d
	v_add_f64 v[193:194], v[104:105], v[199:200]
	v_add_f64 v[195:196], v[106:107], v[201:202]
	v_add_f64 v[10:11], v[110:111], -v[209:210]
	s_mov_b32 s8, 0x2b2883cd
	s_mov_b32 s24, 0x6c9a05f6
	v_mul_f64 v[20:21], v[4:5], s[10:11]
	s_mov_b32 s9, 0x3fdc86fa
	v_mov_b32_e32 v0, v199
	s_mov_b32 s25, 0xbfe9895b
	v_add_f64 v[205:206], v[104:105], -v[199:200]
	v_mul_f64 v[14:15], v[195:196], s[8:9]
	v_mov_b32_e32 v1, v200
	v_mov_b32_e32 v2, v201
	v_fma_f64 v[48:49], v[193:194], s[8:9], -v[20:21]
	v_mov_b32_e32 v3, v202
	v_add_f64 v[199:200], v[108:109], v[207:208]
	v_add_f64 v[201:202], v[110:111], v[209:210]
	v_mul_f64 v[22:23], v[10:11], s[24:25]
	s_mov_b32 s18, 0xeb564b22
	s_mov_b32 s20, 0x6ed5f1bb
	;; [unrolled: 1-line block ×4, first 2 shown]
	v_add_f64 v[48:49], v[96:97], v[48:49]
	v_fma_f64 v[50:51], v[205:206], s[10:11], v[14:15]
	v_mul_f64 v[18:19], v[4:5], s[18:19]
	v_add_f64 v[217:218], v[108:109], -v[207:208]
	v_mul_f64 v[16:17], v[201:202], s[20:21]
	v_fma_f64 v[156:157], v[199:200], s[20:21], -v[22:23]
	s_mov_b32 s16, 0x3259b75e
	s_mov_b32 s26, 0xacd6c6b4
	;; [unrolled: 1-line block ×4, first 2 shown]
	v_add_f64 v[50:51], v[98:99], v[50:51]
	v_mul_f64 v[58:59], v[195:196], s[16:17]
	v_fma_f64 v[52:53], v[193:194], s[16:17], -v[18:19]
	v_add_f64 v[48:49], v[156:157], v[48:49]
	v_fma_f64 v[156:157], v[217:218], s[24:25], v[16:17]
	v_mul_f64 v[62:63], v[10:11], s[26:27]
	s_mov_b32 s22, 0x7faef3
	s_mov_b32 s23, 0xbfef7484
	v_mul_f64 v[64:65], v[201:202], s[22:23]
	v_fma_f64 v[54:55], v[205:206], s[18:19], v[58:59]
	v_add_f64 v[52:53], v[96:97], v[52:53]
	v_add_f64 v[12:13], v[102:103], -v[154:155]
	v_add_f64 v[50:51], v[156:157], v[50:51]
	v_fma_f64 v[156:157], v[199:200], s[22:23], -v[62:63]
	v_mov_b32_e32 v6, v207
	s_mov_b32 s49, 0x3fc7851a
	s_mov_b32 s48, s26
	v_add_f64 v[54:55], v[98:99], v[54:55]
	v_mov_b32_e32 v7, v208
	v_mov_b32_e32 v8, v209
	;; [unrolled: 1-line block ×3, first 2 shown]
	v_add_f64 v[52:53], v[156:157], v[52:53]
	v_fma_f64 v[156:157], v[217:218], s[26:27], v[64:65]
	v_add_f64 v[207:208], v[100:101], v[152:153]
	v_add_f64 v[209:210], v[102:103], v[154:155]
	v_mul_f64 v[24:25], v[12:13], s[48:49]
	v_add_f64 v[213:214], v[100:101], -v[152:153]
	s_mov_b32 s38, 0x923c349f
	s_mov_b32 s39, 0x3feec746
	v_mul_f64 v[211:212], v[12:13], s[38:39]
	v_add_f64 v[54:55], v[156:157], v[54:55]
	s_mov_b32 s28, 0xc61f0d01
	v_mul_f64 v[60:61], v[209:210], s[22:23]
	v_fma_f64 v[156:157], v[207:208], s[22:23], -v[24:25]
	s_mov_b32 s29, 0xbfd183b1
	v_mul_f64 v[221:222], v[209:210], s[28:29]
	v_add_f64 v[66:67], v[118:119], -v[150:151]
	v_add_f64 v[215:216], v[116:117], v[148:149]
	v_add_f64 v[219:220], v[118:119], v[150:151]
	;; [unrolled: 1-line block ×3, first 2 shown]
	s_mov_b32 s36, 0x910ea3b9
	v_add_f64 v[48:49], v[156:157], v[48:49]
	v_fma_f64 v[156:157], v[213:214], s[48:49], v[60:61]
	v_add_f64 v[223:224], v[116:117], -v[148:149]
	v_mul_f64 v[56:57], v[66:67], s[38:39]
	s_mov_b32 s37, 0xbfeb34fa
	v_mul_f64 v[166:167], v[219:220], s[28:29]
	v_mul_f64 v[158:159], v[237:238], s[36:37]
	s_mov_b32 s46, 0x5d8e7cdc
	s_mov_b32 s47, 0x3fd71e95
	v_add_f64 v[50:51], v[156:157], v[50:51]
	v_fma_f64 v[156:157], v[207:208], s[28:29], -v[211:212]
	v_mul_f64 v[172:173], v[66:67], s[46:47]
	buffer_store_dword v158, off, s[64:67], 0 offset:176 ; 4-byte Folded Spill
	s_nop 0
	buffer_store_dword v159, off, s[64:67], 0 offset:180 ; 4-byte Folded Spill
	s_mov_b32 s30, 0x370991
	s_mov_b32 s31, 0x3fedd6d0
	v_mul_f64 v[176:177], v[219:220], s[30:31]
	v_add_f64 v[52:53], v[156:157], v[52:53]
	v_fma_f64 v[156:157], v[213:214], s[38:39], v[221:222]
	v_add_f64 v[231:232], v[122:123], -v[146:147]
	s_mov_b32 s50, 0x2a9d6da3
	s_mov_b32 s51, 0x3fe58eea
	v_add_f64 v[225:226], v[120:121], v[144:145]
	v_add_f64 v[227:228], v[122:123], v[146:147]
	s_mov_b32 s34, 0x75d4884
	s_mov_b32 s35, 0x3fe7a5f6
	v_add_f64 v[54:55], v[156:157], v[54:55]
	v_fma_f64 v[156:157], v[215:216], s[28:29], -v[56:57]
	v_mul_f64 v[34:35], v[231:232], s[50:51]
	v_add_f64 v[235:236], v[120:121], -v[144:145]
	v_mul_f64 v[184:185], v[231:232], s[10:11]
	v_mul_f64 v[170:171], v[227:228], s[34:35]
	;; [unrolled: 1-line block ×3, first 2 shown]
	v_add_f64 v[245:246], v[114:115], -v[142:143]
	s_mov_b32 s41, 0xbfd71e95
	v_add_f64 v[48:49], v[156:157], v[48:49]
	v_fma_f64 v[156:157], v[223:224], s[38:39], v[166:167]
	s_mov_b32 s40, s46
	v_add_f64 v[233:234], v[112:113], v[140:141]
	v_add_f64 v[243:244], v[112:113], -v[140:141]
	v_mul_f64 v[174:175], v[237:238], s[30:31]
	v_mul_f64 v[168:169], v[245:246], s[40:41]
	s_mov_b32 s42, 0x4363dd80
	s_mov_b32 s43, 0xbfe0d888
	v_add_f64 v[50:51], v[156:157], v[50:51]
	v_fma_f64 v[156:157], v[215:216], s[30:31], -v[172:173]
	v_mul_f64 v[203:204], v[245:246], s[42:43]
	v_add_f64 v[253:254], v[126:127], -v[138:139]
	v_add_f64 v[247:248], v[124:125], v[136:137]
	v_add_f64 v[251:252], v[126:127], v[138:139]
	v_add_f64 v[249:250], v[124:125], -v[136:137]
	s_mov_b32 s57, 0x3fe9895b
	s_mov_b32 s56, s24
	v_add_f64 v[52:53], v[156:157], v[52:53]
	v_fma_f64 v[156:157], v[223:224], s[46:47], v[176:177]
	v_mul_f64 v[182:183], v[253:254], s[18:19]
	v_add_f64 v[241:242], v[130:131], v[134:135]
	v_mul_f64 v[188:189], v[251:252], s[16:17]
	v_add_f64 v[229:230], v[130:131], -v[134:135]
	v_add_f64 v[239:240], v[128:129], v[132:133]
	v_add_f64 v[164:165], v[128:129], -v[132:133]
	v_add_f64 v[54:55], v[156:157], v[54:55]
	v_fma_f64 v[156:157], v[225:226], s[34:35], -v[34:35]
	v_mul_f64 v[162:163], v[241:242], s[34:35]
	v_mul_f64 v[190:191], v[229:230], s[42:43]
	v_add_f64 v[48:49], v[156:157], v[48:49]
	v_fma_f64 v[156:157], v[235:236], s[50:51], v[170:171]
	v_add_f64 v[50:51], v[156:157], v[50:51]
	v_fma_f64 v[156:157], v[225:226], s[8:9], -v[184:185]
	v_add_f64 v[52:53], v[156:157], v[52:53]
	v_fma_f64 v[156:157], v[235:236], s[10:11], v[186:187]
	v_add_f64 v[54:55], v[156:157], v[54:55]
	v_fma_f64 v[156:157], v[233:234], s[30:31], -v[168:169]
	;; [unrolled: 4-line block ×3, first 2 shown]
	v_add_f64 v[52:53], v[156:157], v[52:53]
	v_fma_f64 v[156:157], v[243:244], s[42:43], v[158:159]
	v_mul_f64 v[158:159], v[251:252], s[20:21]
	v_add_f64 v[54:55], v[156:157], v[54:55]
	v_fma_f64 v[156:157], v[247:248], s[16:17], -v[182:183]
	v_add_f64 v[48:49], v[156:157], v[48:49]
	v_fma_f64 v[156:157], v[249:250], s[18:19], v[188:189]
	v_add_f64 v[50:51], v[156:157], v[50:51]
	v_mul_f64 v[156:157], v[253:254], s[56:57]
	buffer_store_dword v156, off, s[64:67], 0 offset:184 ; 4-byte Folded Spill
	s_nop 0
	buffer_store_dword v157, off, s[64:67], 0 offset:188 ; 4-byte Folded Spill
	buffer_store_dword v158, off, s[64:67], 0 offset:208 ; 4-byte Folded Spill
	s_nop 0
	buffer_store_dword v159, off, s[64:67], 0 offset:212 ; 4-byte Folded Spill
	v_fma_f64 v[156:157], v[247:248], s[20:21], -v[156:157]
	v_add_f64 v[52:53], v[156:157], v[52:53]
	v_fma_f64 v[156:157], v[249:250], s[56:57], v[158:159]
	v_mul_f64 v[158:159], v[241:242], s[36:37]
	buffer_store_dword v158, off, s[64:67], 0 offset:192 ; 4-byte Folded Spill
	s_nop 0
	buffer_store_dword v159, off, s[64:67], 0 offset:196 ; 4-byte Folded Spill
	buffer_store_dword v162, off, s[64:67], 0 offset:200 ; 4-byte Folded Spill
	s_nop 0
	buffer_store_dword v163, off, s[64:67], 0 offset:204 ; 4-byte Folded Spill
	v_add_f64 v[54:55], v[156:157], v[54:55]
	v_fma_f64 v[156:157], v[239:240], s[36:37], -v[190:191]
	s_waitcnt lgkmcnt(0)
	; wave barrier
	v_add_f64 v[156:157], v[156:157], v[48:49]
	v_fma_f64 v[48:49], v[164:165], s[42:43], v[158:159]
	v_add_f64 v[158:159], v[48:49], v[50:51]
	v_mul_f64 v[50:51], v[229:230], s[50:51]
	v_fma_f64 v[48:49], v[239:240], s[34:35], -v[50:51]
	v_add_f64 v[160:161], v[48:49], v[52:53]
	v_fma_f64 v[48:49], v[164:165], s[50:51], v[162:163]
	v_add_f64 v[162:163], v[48:49], v[54:55]
	s_and_saveexec_b64 s[44:45], s[0:1]
	s_cbranch_execz .LBB0_17
; %bb.16:
	v_mul_f64 v[48:49], v[205:206], s[26:27]
	buffer_store_dword v50, off, s[64:67], 0 offset:280 ; 4-byte Folded Spill
	s_nop 0
	buffer_store_dword v51, off, s[64:67], 0 offset:284 ; 4-byte Folded Spill
	v_mul_f64 v[50:51], v[217:218], s[46:47]
	v_mul_f64 v[54:55], v[4:5], s[26:27]
	buffer_store_dword v184, off, s[64:67], 0 offset:368 ; 4-byte Folded Spill
	s_nop 0
	buffer_store_dword v185, off, s[64:67], 0 offset:372 ; 4-byte Folded Spill
	buffer_store_dword v186, off, s[64:67], 0 offset:432 ; 4-byte Folded Spill
	s_nop 0
	buffer_store_dword v187, off, s[64:67], 0 offset:436 ; 4-byte Folded Spill
	;; [unrolled: 3-line block ×4, first 2 shown]
	v_fma_f64 v[52:53], v[195:196], s[22:23], v[48:49]
	buffer_store_dword v168, off, s[64:67], 0 offset:272 ; 4-byte Folded Spill
	s_nop 0
	buffer_store_dword v169, off, s[64:67], 0 offset:276 ; 4-byte Folded Spill
	buffer_store_dword v166, off, s[64:67], 0 offset:344 ; 4-byte Folded Spill
	s_nop 0
	buffer_store_dword v167, off, s[64:67], 0 offset:348 ; 4-byte Folded Spill
	;; [unrolled: 3-line block ×3, first 2 shown]
	v_mul_f64 v[186:187], v[213:214], s[42:43]
	v_fma_f64 v[188:189], v[201:202], s[30:31], v[50:51]
	v_mul_f64 v[166:167], v[10:11], s[46:47]
	v_fma_f64 v[170:171], v[193:194], s[22:23], -v[54:55]
	v_add_f64 v[52:53], v[98:99], v[52:53]
	buffer_store_dword v172, off, s[64:67], 0 offset:416 ; 4-byte Folded Spill
	s_nop 0
	buffer_store_dword v173, off, s[64:67], 0 offset:420 ; 4-byte Folded Spill
	buffer_store_dword v174, off, s[64:67], 0 offset:312 ; 4-byte Folded Spill
	s_nop 0
	buffer_store_dword v175, off, s[64:67], 0 offset:316 ; 4-byte Folded Spill
	;; [unrolled: 3-line block ×4, first 2 shown]
	buffer_store_dword v180, off, s[64:67], 0 offset:224 ; 4-byte Folded Spill
	buffer_store_dword v181, off, s[64:67], 0 offset:228 ; 4-byte Folded Spill
	v_mul_f64 v[190:191], v[223:224], s[50:51]
	v_mul_f64 v[174:175], v[12:13], s[42:43]
	v_fma_f64 v[176:177], v[209:210], s[36:37], v[186:187]
	v_add_f64 v[52:53], v[188:189], v[52:53]
	v_fma_f64 v[180:181], v[199:200], s[30:31], -v[166:167]
	v_add_f64 v[170:171], v[96:97], v[170:171]
	buffer_store_dword v182, off, s[64:67], 0 offset:320 ; 4-byte Folded Spill
	s_nop 0
	buffer_store_dword v183, off, s[64:67], 0 offset:324 ; 4-byte Folded Spill
	buffer_store_dword v0, off, s[64:67], 0 ; 4-byte Folded Spill
	s_nop 0
	buffer_store_dword v1, off, s[64:67], 0 offset:4 ; 4-byte Folded Spill
	buffer_store_dword v2, off, s[64:67], 0 offset:8 ; 4-byte Folded Spill
	;; [unrolled: 1-line block ×4, first 2 shown]
	s_nop 0
	buffer_store_dword v21, off, s[64:67], 0 offset:380 ; 4-byte Folded Spill
	buffer_store_dword v6, off, s[64:67], 0 offset:128 ; 4-byte Folded Spill
	s_nop 0
	buffer_store_dword v7, off, s[64:67], 0 offset:132 ; 4-byte Folded Spill
	buffer_store_dword v8, off, s[64:67], 0 offset:136 ; 4-byte Folded Spill
	;; [unrolled: 1-line block ×3, first 2 shown]
	v_mul_f64 v[184:185], v[235:236], s[24:25]
	v_mul_f64 v[172:173], v[66:67], s[50:51]
	v_fma_f64 v[2:3], v[219:220], s[34:35], v[190:191]
	v_add_f64 v[52:53], v[176:177], v[52:53]
	v_fma_f64 v[6:7], v[207:208], s[36:37], -v[174:175]
	v_add_f64 v[170:171], v[180:181], v[170:171]
	s_mov_b32 s54, s10
	v_mov_b32_e32 v21, v5
	buffer_store_dword v34, off, s[64:67], 0 offset:328 ; 4-byte Folded Spill
	s_nop 0
	buffer_store_dword v35, off, s[64:67], 0 offset:332 ; 4-byte Folded Spill
	buffer_store_dword v203, off, s[64:67], 0 offset:448 ; 4-byte Folded Spill
	s_nop 0
	buffer_store_dword v204, off, s[64:67], 0 offset:452 ; 4-byte Folded Spill
	v_mul_f64 v[168:169], v[231:232], s[24:25]
	v_mov_b32_e32 v20, v4
	v_mul_f64 v[4:5], v[243:244], s[54:55]
	v_mov_b32_e32 v34, v197
	v_mov_b32_e32 v35, v198
	v_fma_f64 v[197:198], v[227:228], s[20:21], v[184:185]
	v_fma_f64 v[48:49], v[195:196], s[22:23], -v[48:49]
	v_add_f64 v[2:3], v[2:3], v[52:53]
	v_fma_f64 v[203:204], v[215:216], s[34:35], -v[172:173]
	v_fma_f64 v[54:55], v[193:194], s[22:23], v[54:55]
	v_add_f64 v[6:7], v[6:7], v[170:171]
	s_mov_b32 s53, 0xbfeec746
	s_mov_b32 s52, s38
	v_mul_f64 v[182:183], v[205:206], s[42:43]
	v_mul_f64 v[176:177], v[249:250], s[52:53]
	;; [unrolled: 1-line block ×3, first 2 shown]
	v_fma_f64 v[50:51], v[201:202], s[30:31], -v[50:51]
	v_add_f64 v[48:49], v[98:99], v[48:49]
	v_add_f64 v[2:3], v[197:198], v[2:3]
	v_fma_f64 v[197:198], v[237:238], s[8:9], v[4:5]
	v_fma_f64 v[166:167], v[199:200], s[30:31], v[166:167]
	v_add_f64 v[54:55], v[96:97], v[54:55]
	v_add_f64 v[6:7], v[203:204], v[6:7]
	v_fma_f64 v[203:204], v[225:226], s[20:21], -v[168:169]
	s_mov_b32 s61, 0x3fefdd0d
	s_mov_b32 s60, s18
	v_mul_f64 v[0:1], v[164:165], s[60:61]
	v_mul_f64 v[170:171], v[217:218], s[54:55]
	v_fma_f64 v[186:187], v[209:210], s[36:37], -v[186:187]
	v_add_f64 v[48:49], v[50:51], v[48:49]
	v_fma_f64 v[50:51], v[195:196], s[36:37], v[182:183]
	v_add_f64 v[2:3], v[197:198], v[2:3]
	v_fma_f64 v[197:198], v[251:252], s[28:29], v[176:177]
	v_add_f64 v[54:55], v[166:167], v[54:55]
	v_fma_f64 v[166:167], v[233:234], s[8:9], -v[52:53]
	v_add_f64 v[6:7], v[203:204], v[6:7]
	v_mul_f64 v[203:204], v[253:254], s[52:53]
	v_mul_f64 v[188:189], v[213:214], s[18:19]
	v_add_f64 v[48:49], v[186:187], v[48:49]
	v_fma_f64 v[186:187], v[241:242], s[16:17], v[0:1]
	v_add_f64 v[2:3], v[197:198], v[2:3]
	v_fma_f64 v[197:198], v[201:202], s[8:9], v[170:171]
	v_add_f64 v[50:51], v[98:99], v[50:51]
	v_add_f64 v[6:7], v[166:167], v[6:7]
	v_fma_f64 v[166:167], v[247:248], s[28:29], -v[203:204]
	v_fma_f64 v[174:175], v[207:208], s[36:37], v[174:175]
	v_mul_f64 v[180:181], v[229:230], s[60:61]
	v_fma_f64 v[190:191], v[219:220], s[34:35], -v[190:191]
	v_mul_f64 v[178:179], v[223:224], s[56:57]
	v_add_f64 v[8:9], v[186:187], v[2:3]
	v_add_f64 v[2:3], v[197:198], v[50:51]
	v_fma_f64 v[50:51], v[209:210], s[16:17], v[188:189]
	v_add_f64 v[6:7], v[166:167], v[6:7]
	v_fma_f64 v[166:167], v[215:216], s[34:35], v[172:173]
	v_add_f64 v[54:55], v[174:175], v[54:55]
	v_add_f64 v[48:49], v[190:191], v[48:49]
	v_fma_f64 v[190:191], v[239:240], s[16:17], -v[180:181]
	v_fma_f64 v[184:185], v[227:228], s[20:21], -v[184:185]
	v_mul_f64 v[172:173], v[235:236], s[40:41]
	v_fma_f64 v[174:175], v[219:220], s[20:21], v[178:179]
	v_add_f64 v[2:3], v[50:51], v[2:3]
	v_fma_f64 v[50:51], v[225:226], s[20:21], v[168:169]
	v_add_f64 v[54:55], v[166:167], v[54:55]
	v_fma_f64 v[4:5], v[237:238], s[8:9], -v[4:5]
	v_add_f64 v[6:7], v[190:191], v[6:7]
	v_add_f64 v[48:49], v[184:185], v[48:49]
	v_fma_f64 v[166:167], v[227:228], s[30:31], v[172:173]
	v_fma_f64 v[52:53], v[233:234], s[8:9], v[52:53]
	v_add_f64 v[2:3], v[174:175], v[2:3]
	buffer_store_dword v6, off, s[64:67], 0 offset:232 ; 4-byte Folded Spill
	s_nop 0
	buffer_store_dword v7, off, s[64:67], 0 offset:236 ; 4-byte Folded Spill
	buffer_store_dword v8, off, s[64:67], 0 offset:240 ; 4-byte Folded Spill
	;; [unrolled: 1-line block ×3, first 2 shown]
	v_add_f64 v[50:51], v[50:51], v[54:55]
	v_fma_f64 v[6:7], v[251:252], s[28:29], -v[176:177]
	v_add_f64 v[4:5], v[4:5], v[48:49]
	v_mul_f64 v[48:49], v[243:244], s[26:27]
	v_mul_f64 v[168:169], v[20:21], s[42:43]
	v_add_f64 v[2:3], v[166:167], v[2:3]
	v_fma_f64 v[166:167], v[247:248], s[28:29], v[203:204]
	v_fma_f64 v[0:1], v[241:242], s[16:17], -v[0:1]
	v_add_f64 v[50:51], v[52:53], v[50:51]
	v_mul_f64 v[174:175], v[10:11], s[54:55]
	v_add_f64 v[4:5], v[6:7], v[4:5]
	v_mul_f64 v[6:7], v[249:250], s[50:51]
	v_fma_f64 v[54:55], v[237:238], s[22:23], v[48:49]
	v_fma_f64 v[176:177], v[193:194], s[36:37], -v[168:169]
	v_fma_f64 v[52:53], v[239:240], s[16:17], v[180:181]
	buffer_store_dword v24, off, s[64:67], 0 offset:456 ; 4-byte Folded Spill
	s_nop 0
	buffer_store_dword v25, off, s[64:67], 0 offset:460 ; 4-byte Folded Spill
	v_add_f64 v[50:51], v[166:167], v[50:51]
	buffer_store_dword v22, off, s[64:67], 0 offset:464 ; 4-byte Folded Spill
	s_nop 0
	buffer_store_dword v23, off, s[64:67], 0 offset:468 ; 4-byte Folded Spill
	v_mul_f64 v[180:181], v[164:165], s[52:53]
	v_fma_f64 v[184:185], v[251:252], s[34:35], v[6:7]
	v_add_f64 v[2:3], v[54:55], v[2:3]
	v_mul_f64 v[54:55], v[12:13], s[18:19]
	v_fma_f64 v[186:187], v[199:200], s[8:9], -v[174:175]
	v_add_f64 v[176:177], v[96:97], v[176:177]
	v_add_f64 v[24:25], v[0:1], v[4:5]
	v_fma_f64 v[4:5], v[195:196], s[36:37], -v[182:183]
	v_add_f64 v[22:23], v[52:53], v[50:51]
	v_fma_f64 v[50:51], v[193:194], s[36:37], v[168:169]
	v_fma_f64 v[0:1], v[241:242], s[28:29], v[180:181]
	v_add_f64 v[2:3], v[184:185], v[2:3]
	v_mul_f64 v[166:167], v[66:67], s[56:57]
	v_fma_f64 v[182:183], v[207:208], s[16:17], -v[54:55]
	v_add_f64 v[176:177], v[186:187], v[176:177]
	v_fma_f64 v[52:53], v[201:202], s[8:9], -v[170:171]
	v_add_f64 v[4:5], v[98:99], v[4:5]
	v_fma_f64 v[170:171], v[199:200], s[8:9], v[174:175]
	v_add_f64 v[50:51], v[96:97], v[50:51]
	buffer_store_dword v22, off, s[64:67], 0 offset:248 ; 4-byte Folded Spill
	s_nop 0
	buffer_store_dword v23, off, s[64:67], 0 offset:252 ; 4-byte Folded Spill
	buffer_store_dword v24, off, s[64:67], 0 offset:256 ; 4-byte Folded Spill
	buffer_store_dword v25, off, s[64:67], 0 offset:260 ; 4-byte Folded Spill
	v_add_f64 v[22:23], v[0:1], v[2:3]
	v_fma_f64 v[2:3], v[215:216], s[20:21], -v[166:167]
	v_add_f64 v[168:169], v[182:183], v[176:177]
	v_fma_f64 v[174:175], v[209:210], s[16:17], -v[188:189]
	v_add_f64 v[4:5], v[52:53], v[4:5]
	v_fma_f64 v[54:55], v[207:208], s[16:17], v[54:55]
	v_add_f64 v[50:51], v[170:171], v[50:51]
	v_mul_f64 v[0:1], v[231:232], s[40:41]
	v_fma_f64 v[166:167], v[215:216], s[20:21], v[166:167]
	v_mul_f64 v[176:177], v[245:246], s[26:27]
	v_add_f64 v[2:3], v[2:3], v[168:169]
	v_fma_f64 v[168:169], v[219:220], s[20:21], -v[178:179]
	v_add_f64 v[4:5], v[174:175], v[4:5]
	v_mul_f64 v[178:179], v[205:206], s[24:25]
	v_add_f64 v[50:51], v[54:55], v[50:51]
	v_fma_f64 v[182:183], v[225:226], s[30:31], -v[0:1]
	v_fma_f64 v[54:55], v[227:228], s[30:31], -v[172:173]
	v_fma_f64 v[0:1], v[225:226], s[30:31], v[0:1]
	v_fma_f64 v[174:175], v[233:234], s[22:23], -v[176:177]
	v_mul_f64 v[172:173], v[217:218], s[38:39]
	v_add_f64 v[4:5], v[168:169], v[4:5]
	v_mul_f64 v[168:169], v[253:254], s[50:51]
	v_add_f64 v[50:51], v[166:167], v[50:51]
	v_add_f64 v[2:3], v[182:183], v[2:3]
	v_fma_f64 v[182:183], v[195:196], s[20:21], v[178:179]
	v_fma_f64 v[48:49], v[237:238], s[22:23], -v[48:49]
	v_fma_f64 v[176:177], v[233:234], s[22:23], v[176:177]
	v_fma_f64 v[166:167], v[201:202], s[28:29], v[172:173]
	v_add_f64 v[4:5], v[54:55], v[4:5]
	v_mul_f64 v[54:55], v[213:214], s[40:41]
	v_add_f64 v[0:1], v[0:1], v[50:51]
	v_add_f64 v[2:3], v[174:175], v[2:3]
	;; [unrolled: 1-line block ×3, first 2 shown]
	v_mul_f64 v[52:53], v[229:230], s[52:53]
	v_fma_f64 v[182:183], v[247:248], s[34:35], -v[168:169]
	v_fma_f64 v[6:7], v[251:252], s[34:35], -v[6:7]
	v_add_f64 v[4:5], v[48:49], v[4:5]
	v_fma_f64 v[168:169], v[247:248], s[34:35], v[168:169]
	v_add_f64 v[0:1], v[176:177], v[0:1]
	v_mul_f64 v[48:49], v[223:224], s[42:43]
	v_fma_f64 v[50:51], v[209:210], s[30:31], v[54:55]
	v_add_f64 v[166:167], v[166:167], v[174:175]
	v_fma_f64 v[170:171], v[239:240], s[28:29], -v[52:53]
	v_add_f64 v[2:3], v[182:183], v[2:3]
	v_fma_f64 v[174:175], v[241:242], s[28:29], -v[180:181]
	v_add_f64 v[4:5], v[6:7], v[4:5]
	v_fma_f64 v[52:53], v[239:240], s[28:29], v[52:53]
	v_add_f64 v[0:1], v[168:169], v[0:1]
	v_mul_f64 v[6:7], v[235:236], s[60:61]
	v_fma_f64 v[176:177], v[219:220], s[36:37], v[48:49]
	v_add_f64 v[50:51], v[50:51], v[166:167]
	v_mul_f64 v[166:167], v[20:21], s[24:25]
	v_mov_b32_e32 v8, v20
	v_mov_b32_e32 v9, v21
	s_mov_b32 s59, 0xbfe58eea
	s_mov_b32 s58, s50
	v_add_f64 v[20:21], v[170:171], v[2:3]
	v_add_f64 v[2:3], v[174:175], v[4:5]
	;; [unrolled: 1-line block ×3, first 2 shown]
	v_mul_f64 v[168:169], v[243:244], s[58:59]
	v_fma_f64 v[180:181], v[227:228], s[16:17], v[6:7]
	v_add_f64 v[50:51], v[176:177], v[50:51]
	v_mul_f64 v[176:177], v[10:11], s[38:39]
	v_fma_f64 v[182:183], v[193:194], s[20:21], -v[166:167]
	buffer_store_dword v20, off, s[64:67], 0 offset:352 ; 4-byte Folded Spill
	s_nop 0
	buffer_store_dword v21, off, s[64:67], 0 offset:356 ; 4-byte Folded Spill
	buffer_store_dword v22, off, s[64:67], 0 offset:360 ; 4-byte Folded Spill
	;; [unrolled: 1-line block ×4, first 2 shown]
	s_nop 0
	buffer_store_dword v1, off, s[64:67], 0 offset:388 ; 4-byte Folded Spill
	buffer_store_dword v2, off, s[64:67], 0 offset:392 ; 4-byte Folded Spill
	;; [unrolled: 1-line block ×3, first 2 shown]
	v_mul_f64 v[0:1], v[249:250], s[26:27]
	v_fma_f64 v[2:3], v[237:238], s[34:35], v[168:169]
	v_add_f64 v[4:5], v[180:181], v[50:51]
	v_fma_f64 v[50:51], v[199:200], s[28:29], -v[176:177]
	v_add_f64 v[52:53], v[96:97], v[182:183]
	v_mul_f64 v[170:171], v[12:13], s[40:41]
	v_fma_f64 v[172:173], v[201:202], s[28:29], -v[172:173]
	v_fma_f64 v[54:55], v[209:210], s[30:31], -v[54:55]
	v_fma_f64 v[174:175], v[251:252], s[22:23], v[0:1]
	v_fma_f64 v[48:49], v[219:220], s[36:37], -v[48:49]
	v_add_f64 v[2:3], v[2:3], v[4:5]
	v_mul_f64 v[4:5], v[66:67], s[42:43]
	v_add_f64 v[50:51], v[50:51], v[52:53]
	v_fma_f64 v[52:53], v[207:208], s[30:31], -v[170:171]
	v_fma_f64 v[6:7], v[227:228], s[16:17], -v[6:7]
	s_mov_b32 s63, 0x3fe0d888
	s_mov_b32 s62, s42
	v_fma_f64 v[0:1], v[251:252], s[22:23], -v[0:1]
	v_add_f64 v[2:3], v[174:175], v[2:3]
	v_fma_f64 v[174:175], v[215:216], s[36:37], -v[4:5]
	v_fma_f64 v[4:5], v[215:216], s[36:37], v[4:5]
	v_add_f64 v[50:51], v[52:53], v[50:51]
	v_mul_f64 v[52:53], v[231:232], s[60:61]
	v_mul_f64 v[203:204], v[225:226], s[8:9]
	;; [unrolled: 1-line block ×3, first 2 shown]
	v_add_f64 v[104:105], v[96:97], v[104:105]
	v_add_f64 v[50:51], v[174:175], v[50:51]
	v_fma_f64 v[174:175], v[225:226], s[16:17], -v[52:53]
	v_fma_f64 v[52:53], v[225:226], s[16:17], v[52:53]
	v_add_f64 v[104:105], v[104:105], v[108:109]
	v_add_f64 v[50:51], v[174:175], v[50:51]
	v_mul_f64 v[174:175], v[245:246], s[58:59]
	v_fma_f64 v[180:181], v[233:234], s[34:35], -v[174:175]
	v_add_f64 v[50:51], v[180:181], v[50:51]
	v_mul_f64 v[180:181], v[253:254], s[26:27]
	v_fma_f64 v[182:183], v[247:248], s[22:23], -v[180:181]
	v_add_f64 v[50:51], v[182:183], v[50:51]
	v_mul_f64 v[182:183], v[164:165], s[54:55]
	v_fma_f64 v[184:185], v[241:242], s[8:9], v[182:183]
	v_add_f64 v[22:23], v[184:185], v[2:3]
	v_mul_f64 v[2:3], v[229:230], s[54:55]
	v_fma_f64 v[184:185], v[239:240], s[8:9], -v[2:3]
	v_fma_f64 v[2:3], v[239:240], s[8:9], v[2:3]
	v_add_f64 v[20:21], v[184:185], v[50:51]
	v_fma_f64 v[50:51], v[195:196], s[20:21], -v[178:179]
	buffer_store_dword v20, off, s[64:67], 0 offset:400 ; 4-byte Folded Spill
	s_nop 0
	buffer_store_dword v21, off, s[64:67], 0 offset:404 ; 4-byte Folded Spill
	buffer_store_dword v22, off, s[64:67], 0 offset:408 ; 4-byte Folded Spill
	;; [unrolled: 1-line block ×3, first 2 shown]
	v_add_f64 v[50:51], v[98:99], v[50:51]
	v_mov_b32_e32 v185, v9
	v_mov_b32_e32 v184, v8
	v_add_f64 v[50:51], v[172:173], v[50:51]
	v_fma_f64 v[172:173], v[247:248], s[22:23], v[180:181]
	v_add_f64 v[50:51], v[54:55], v[50:51]
	v_fma_f64 v[54:55], v[237:238], s[34:35], -v[168:169]
	v_add_f64 v[48:49], v[48:49], v[50:51]
	v_fma_f64 v[50:51], v[193:194], s[20:21], v[166:167]
	v_mul_f64 v[166:167], v[205:206], s[52:53]
	v_add_f64 v[6:7], v[6:7], v[48:49]
	v_fma_f64 v[48:49], v[199:200], s[28:29], v[176:177]
	v_add_f64 v[50:51], v[96:97], v[50:51]
	v_fma_f64 v[168:169], v[195:196], s[28:29], v[166:167]
	;; [unrolled: 2-line block ×3, first 2 shown]
	v_add_f64 v[48:49], v[48:49], v[50:51]
	v_mul_f64 v[50:51], v[217:218], s[62:63]
	v_add_f64 v[168:169], v[98:99], v[168:169]
	v_fma_f64 v[170:171], v[233:234], s[34:35], v[174:175]
	v_fma_f64 v[174:175], v[241:242], s[8:9], -v[182:183]
	v_add_f64 v[0:1], v[0:1], v[6:7]
	v_add_f64 v[6:7], v[54:55], v[48:49]
	v_mul_f64 v[48:49], v[213:214], s[50:51]
	v_fma_f64 v[54:55], v[201:202], s[36:37], v[50:51]
	v_fma_f64 v[50:51], v[201:202], s[36:37], -v[50:51]
	v_add_f64 v[22:23], v[174:175], v[0:1]
	v_add_f64 v[4:5], v[4:5], v[6:7]
	v_fma_f64 v[6:7], v[209:210], s[34:35], v[48:49]
	v_add_f64 v[54:55], v[54:55], v[168:169]
	v_mul_f64 v[168:169], v[223:224], s[10:11]
	v_fma_f64 v[48:49], v[209:210], s[34:35], -v[48:49]
	v_add_f64 v[4:5], v[52:53], v[4:5]
	v_mul_f64 v[52:53], v[235:236], s[26:27]
	v_add_f64 v[6:7], v[6:7], v[54:55]
	v_fma_f64 v[54:55], v[219:220], s[8:9], v[168:169]
	v_add_f64 v[4:5], v[170:171], v[4:5]
	v_fma_f64 v[170:171], v[227:228], s[22:23], v[52:53]
	v_add_f64 v[6:7], v[54:55], v[6:7]
	v_mul_f64 v[54:55], v[243:244], s[60:61]
	v_add_f64 v[4:5], v[172:173], v[4:5]
	v_mul_f64 v[172:173], v[249:250], s[40:41]
	v_add_f64 v[6:7], v[170:171], v[6:7]
	v_fma_f64 v[170:171], v[237:238], s[16:17], v[54:55]
	v_add_f64 v[20:21], v[2:3], v[4:5]
	v_fma_f64 v[0:1], v[251:252], s[30:31], v[172:173]
	v_mul_f64 v[4:5], v[8:9], s[52:53]
	buffer_store_dword v20, off, s[64:67], 0 offset:472 ; 4-byte Folded Spill
	s_nop 0
	buffer_store_dword v21, off, s[64:67], 0 offset:476 ; 4-byte Folded Spill
	buffer_store_dword v22, off, s[64:67], 0 offset:480 ; 4-byte Folded Spill
	;; [unrolled: 1-line block ×3, first 2 shown]
	v_add_f64 v[2:3], v[170:171], v[6:7]
	v_mul_f64 v[6:7], v[10:11], s[62:63]
	buffer_load_dword v8, off, s[64:67], 0 offset:208 ; 4-byte Folded Reload
	buffer_load_dword v9, off, s[64:67], 0 offset:212 ; 4-byte Folded Reload
	v_add_f64 v[0:1], v[0:1], v[2:3]
	v_fma_f64 v[2:3], v[193:194], s[28:29], -v[4:5]
	v_fma_f64 v[170:171], v[199:200], s[36:37], -v[6:7]
	v_fma_f64 v[4:5], v[193:194], s[28:29], v[4:5]
	v_fma_f64 v[6:7], v[199:200], s[36:37], v[6:7]
	v_add_f64 v[2:3], v[96:97], v[2:3]
	v_add_f64 v[4:5], v[96:97], v[4:5]
	v_add_f64 v[2:3], v[170:171], v[2:3]
	v_mul_f64 v[170:171], v[12:13], s[50:51]
	v_add_f64 v[4:5], v[6:7], v[4:5]
	v_fma_f64 v[174:175], v[207:208], s[34:35], -v[170:171]
	v_fma_f64 v[6:7], v[207:208], s[34:35], v[170:171]
	v_mul_f64 v[170:171], v[199:200], s[22:23]
	v_add_f64 v[2:3], v[174:175], v[2:3]
	v_mul_f64 v[174:175], v[66:67], s[10:11]
	v_add_f64 v[4:5], v[6:7], v[4:5]
	v_add_f64 v[170:171], v[170:171], v[62:63]
	v_fma_f64 v[176:177], v[215:216], s[8:9], -v[174:175]
	v_fma_f64 v[6:7], v[215:216], s[8:9], v[174:175]
	v_mul_f64 v[174:175], v[235:236], s[10:11]
	v_add_f64 v[2:3], v[176:177], v[2:3]
	v_mul_f64 v[176:177], v[231:232], s[26:27]
	v_add_f64 v[4:5], v[6:7], v[4:5]
	v_fma_f64 v[178:179], v[225:226], s[22:23], -v[176:177]
	v_fma_f64 v[6:7], v[225:226], s[22:23], v[176:177]
	v_mul_f64 v[176:177], v[207:208], s[28:29]
	v_add_f64 v[2:3], v[178:179], v[2:3]
	v_mul_f64 v[178:179], v[245:246], s[60:61]
	v_add_f64 v[4:5], v[6:7], v[4:5]
	;; [unrolled: 2-line block ×3, first 2 shown]
	v_mul_f64 v[211:212], v[223:224], s[38:39]
	v_fma_f64 v[180:181], v[233:234], s[16:17], -v[178:179]
	v_add_f64 v[6:7], v[58:59], -v[6:7]
	v_add_f64 v[2:3], v[180:181], v[2:3]
	v_mul_f64 v[180:181], v[253:254], s[40:41]
	v_add_f64 v[6:7], v[98:99], v[6:7]
	v_fma_f64 v[182:183], v[247:248], s[30:31], -v[180:181]
	v_add_f64 v[2:3], v[182:183], v[2:3]
	v_mul_f64 v[182:183], v[164:165], s[24:25]
	v_fma_f64 v[188:189], v[241:242], s[20:21], v[182:183]
	v_add_f64 v[190:191], v[188:189], v[0:1]
	v_mul_f64 v[0:1], v[229:230], s[24:25]
	v_fma_f64 v[188:189], v[239:240], s[20:21], -v[0:1]
	v_fma_f64 v[0:1], v[239:240], s[20:21], v[0:1]
	v_add_f64 v[188:189], v[188:189], v[2:3]
	v_fma_f64 v[2:3], v[195:196], s[28:29], -v[166:167]
	v_mul_f64 v[166:167], v[213:214], s[38:39]
	v_add_f64 v[2:3], v[98:99], v[2:3]
	v_add_f64 v[166:167], v[221:222], -v[166:167]
	v_mov_b32_e32 v222, v11
	v_mov_b32_e32 v221, v10
	v_add_f64 v[2:3], v[50:51], v[2:3]
	v_fma_f64 v[50:51], v[233:234], s[16:17], v[178:179]
	v_mul_f64 v[178:179], v[217:218], s[24:25]
	v_add_f64 v[2:3], v[48:49], v[2:3]
	v_fma_f64 v[48:49], v[219:220], s[8:9], -v[168:169]
	v_mul_f64 v[168:169], v[249:250], s[56:57]
	v_add_f64 v[4:5], v[50:51], v[4:5]
	v_mul_f64 v[50:51], v[193:194], s[8:9]
	v_add_f64 v[2:3], v[48:49], v[2:3]
	s_waitcnt vmcnt(0)
	v_add_f64 v[168:169], v[8:9], -v[168:169]
	buffer_load_dword v8, off, s[64:67], 0 offset:440 ; 4-byte Folded Reload
	buffer_load_dword v9, off, s[64:67], 0 offset:444 ; 4-byte Folded Reload
	v_fma_f64 v[48:49], v[227:228], s[22:23], -v[52:53]
	v_fma_f64 v[52:53], v[251:252], s[30:31], -v[172:173]
	v_mul_f64 v[172:173], v[205:206], s[10:11]
	v_add_f64 v[2:3], v[48:49], v[2:3]
	v_fma_f64 v[48:49], v[237:238], s[16:17], -v[54:55]
	v_fma_f64 v[54:55], v[247:248], s[30:31], v[180:181]
	v_add_f64 v[10:11], v[14:15], -v[172:173]
	v_mul_f64 v[180:181], v[215:216], s[30:31]
	v_mul_f64 v[172:173], v[233:234], s[36:37]
	v_add_f64 v[2:3], v[48:49], v[2:3]
	v_add_f64 v[4:5], v[54:55], v[4:5]
	v_mul_f64 v[54:55], v[223:224], s[46:47]
	v_mul_f64 v[48:49], v[217:218], s[26:27]
	v_add_f64 v[10:11], v[98:99], v[10:11]
	v_add_f64 v[2:3], v[52:53], v[2:3]
	v_mul_f64 v[52:53], v[193:194], s[16:17]
	v_add_f64 v[48:49], v[64:65], -v[48:49]
	v_mov_b32_e32 v65, v13
	v_mov_b32_e32 v64, v12
	v_mul_f64 v[12:13], v[233:234], s[30:31]
	v_add_f64 v[52:53], v[52:53], v[18:19]
	v_mul_f64 v[18:19], v[164:165], s[42:43]
	v_add_f64 v[6:7], v[48:49], v[6:7]
	;; [unrolled: 2-line block ×3, first 2 shown]
	v_add_f64 v[6:7], v[166:167], v[6:7]
	v_mul_f64 v[166:167], v[243:244], s[42:43]
	v_add_f64 v[52:53], v[170:171], v[52:53]
	v_mul_f64 v[170:171], v[213:214], s[48:49]
	v_add_f64 v[52:53], v[176:177], v[52:53]
	v_add_f64 v[170:171], v[60:61], -v[170:171]
	v_mul_f64 v[176:177], v[225:226], s[34:35]
	v_mov_b32_e32 v63, v29
	v_mov_b32_e32 v62, v28
	;; [unrolled: 1-line block ×4, first 2 shown]
	s_waitcnt vmcnt(0)
	v_add_f64 v[54:55], v[8:9], -v[54:55]
	buffer_load_dword v8, off, s[64:67], 0 offset:432 ; 4-byte Folded Reload
	buffer_load_dword v9, off, s[64:67], 0 offset:436 ; 4-byte Folded Reload
	v_add_f64 v[6:7], v[54:55], v[6:7]
	v_mul_f64 v[54:55], v[215:216], s[28:29]
	v_add_f64 v[54:55], v[54:55], v[56:57]
	v_mov_b32_e32 v59, v43
	v_mov_b32_e32 v58, v42
	;; [unrolled: 1-line block ×12, first 2 shown]
	s_waitcnt vmcnt(0)
	v_add_f64 v[174:175], v[8:9], -v[174:175]
	buffer_load_dword v8, off, s[64:67], 0 offset:176 ; 4-byte Folded Reload
	buffer_load_dword v9, off, s[64:67], 0 offset:180 ; 4-byte Folded Reload
	v_add_f64 v[6:7], v[174:175], v[6:7]
	v_add_f64 v[174:175], v[16:17], -v[178:179]
	v_mul_f64 v[178:179], v[249:250], s[18:19]
	v_add_f64 v[10:11], v[174:175], v[10:11]
	v_fma_f64 v[174:175], v[241:242], s[20:21], -v[182:183]
	v_add_f64 v[10:11], v[170:171], v[10:11]
	v_add_f64 v[174:175], v[174:175], v[2:3]
	v_mul_f64 v[2:3], v[205:206], s[58:59]
	v_mul_f64 v[170:171], v[184:185], s[58:59]
	s_waitcnt vmcnt(0)
	v_add_f64 v[166:167], v[8:9], -v[166:167]
	buffer_load_dword v8, off, s[64:67], 0 offset:416 ; 4-byte Folded Reload
	buffer_load_dword v9, off, s[64:67], 0 offset:420 ; 4-byte Folded Reload
	;; [unrolled: 1-line block ×8, first 2 shown]
	v_add_f64 v[6:7], v[166:167], v[6:7]
	v_mul_f64 v[166:167], v[247:248], s[16:17]
	v_add_f64 v[6:7], v[168:169], v[6:7]
	s_waitcnt vmcnt(6)
	v_add_f64 v[180:181], v[180:181], v[8:9]
	s_waitcnt vmcnt(4)
	v_add_f64 v[14:15], v[203:204], v[14:15]
	v_mul_f64 v[203:204], v[164:165], s[50:51]
	s_waitcnt vmcnt(2)
	v_add_f64 v[172:173], v[172:173], v[16:17]
	v_mul_f64 v[8:9], v[235:236], s[50:51]
	v_mul_f64 v[16:17], v[239:240], s[36:37]
	v_add_f64 v[52:53], v[180:181], v[52:53]
	v_mul_f64 v[180:181], v[243:244], s[40:41]
	s_waitcnt vmcnt(0)
	v_add_f64 v[182:183], v[20:21], -v[203:204]
	buffer_load_dword v20, off, s[64:67], 0 offset:344 ; 4-byte Folded Reload
	buffer_load_dword v21, off, s[64:67], 0 offset:348 ; 4-byte Folded Reload
	v_mul_f64 v[203:204], v[239:240], s[34:35]
	v_add_f64 v[14:15], v[14:15], v[52:53]
	v_mul_f64 v[52:53], v[247:248], s[20:21]
	v_add_f64 v[168:169], v[182:183], v[6:7]
	;; [unrolled: 2-line block ×3, first 2 shown]
	v_add_f64 v[172:173], v[0:1], v[4:5]
	s_waitcnt vmcnt(0)
	v_add_f64 v[211:212], v[20:21], -v[211:212]
	buffer_load_dword v20, off, s[64:67], 0 offset:184 ; 4-byte Folded Reload
	buffer_load_dword v21, off, s[64:67], 0 offset:188 ; 4-byte Folded Reload
	;; [unrolled: 1-line block ×6, first 2 shown]
	v_add_f64 v[4:5], v[211:212], v[10:11]
	buffer_load_dword v10, off, s[64:67], 0 offset:192 ; 4-byte Folded Reload
	buffer_load_dword v11, off, s[64:67], 0 offset:196 ; 4-byte Folded Reload
	v_fma_f64 v[211:212], v[199:200], s[16:17], -v[182:183]
	s_waitcnt vmcnt(6)
	v_add_f64 v[52:53], v[52:53], v[20:21]
	s_waitcnt vmcnt(4)
	v_add_f64 v[0:1], v[0:1], -v[8:9]
	s_waitcnt vmcnt(2)
	v_add_f64 v[6:7], v[203:204], v[6:7]
	v_mul_f64 v[203:204], v[223:224], s[26:27]
	v_add_f64 v[8:9], v[52:53], v[14:15]
	s_waitcnt vmcnt(0)
	v_add_f64 v[10:11], v[10:11], -v[18:19]
	buffer_load_dword v14, off, s[64:67], 0 offset:376 ; 4-byte Folded Reload
	buffer_load_dword v15, off, s[64:67], 0 offset:380 ; 4-byte Folded Reload
	;; [unrolled: 1-line block ×4, first 2 shown]
	v_add_f64 v[0:1], v[0:1], v[4:5]
	buffer_load_dword v4, off, s[64:67], 0 offset:296 ; 4-byte Folded Reload
	buffer_load_dword v5, off, s[64:67], 0 offset:300 ; 4-byte Folded Reload
	;; [unrolled: 1-line block ×4, first 2 shown]
	v_mul_f64 v[52:53], v[217:218], s[18:19]
	s_waitcnt vmcnt(6)
	v_add_f64 v[14:15], v[50:51], v[14:15]
	s_waitcnt vmcnt(4)
	v_add_f64 v[18:19], v[18:19], -v[180:181]
	v_fma_f64 v[50:51], v[195:196], s[34:35], v[2:3]
	s_waitcnt vmcnt(2)
	v_add_f64 v[4:5], v[4:5], -v[178:179]
	s_waitcnt vmcnt(0)
	v_add_f64 v[48:49], v[48:49], v[20:21]
	v_mul_f64 v[178:179], v[213:214], s[24:25]
	v_fma_f64 v[180:181], v[201:202], s[16:17], v[52:53]
	v_fma_f64 v[20:21], v[219:220], s[22:23], v[203:204]
	v_add_f64 v[14:15], v[96:97], v[14:15]
	v_add_f64 v[0:1], v[18:19], v[0:1]
	;; [unrolled: 1-line block ×3, first 2 shown]
	buffer_load_dword v18, off, s[64:67], 0 offset:456 ; 4-byte Folded Reload
	buffer_load_dword v19, off, s[64:67], 0 offset:460 ; 4-byte Folded Reload
	;; [unrolled: 1-line block ×4, first 2 shown]
	v_fma_f64 v[2:3], v[195:196], s[34:35], -v[2:3]
	v_add_f64 v[14:15], v[48:49], v[14:15]
	v_fma_f64 v[48:49], v[209:210], s[20:21], v[178:179]
	v_add_f64 v[50:51], v[180:181], v[50:51]
	v_mul_f64 v[180:181], v[64:65], s[24:25]
	v_add_f64 v[0:1], v[4:5], v[0:1]
	v_mul_f64 v[4:5], v[253:254], s[54:55]
	v_add_f64 v[2:3], v[98:99], v[2:3]
	v_add_f64 v[22:23], v[48:49], v[50:51]
	v_fma_f64 v[50:51], v[207:208], s[20:21], -v[180:181]
	v_fma_f64 v[32:33], v[247:248], s[8:9], -v[4:5]
	v_fma_f64 v[4:5], v[247:248], s[8:9], v[4:5]
	v_add_f64 v[20:21], v[20:21], v[22:23]
	buffer_load_dword v22, off, s[64:67], 0 offset:272 ; 4-byte Folded Reload
	buffer_load_dword v23, off, s[64:67], 0 offset:276 ; 4-byte Folded Reload
	buffer_load_dword v28, off, s[64:67], 0 offset:320 ; 4-byte Folded Reload
	buffer_load_dword v29, off, s[64:67], 0 offset:324 ; 4-byte Folded Reload
	s_waitcnt vmcnt(6)
	v_add_f64 v[18:19], v[197:198], v[18:19]
	v_fma_f64 v[197:198], v[193:194], s[34:35], -v[170:171]
	s_waitcnt vmcnt(4)
	v_add_f64 v[48:49], v[176:177], v[24:25]
	v_mul_f64 v[176:177], v[66:67], s[26:27]
	v_add_f64 v[14:15], v[18:19], v[14:15]
	v_add_f64 v[197:198], v[96:97], v[197:198]
	v_mul_f64 v[18:19], v[235:236], s[62:63]
	v_fma_f64 v[24:25], v[215:216], s[22:23], -v[176:177]
	v_add_f64 v[14:15], v[54:55], v[14:15]
	v_add_f64 v[197:198], v[211:212], v[197:198]
	v_mul_f64 v[211:212], v[243:244], s[38:39]
	v_fma_f64 v[54:55], v[227:228], s[36:37], v[18:19]
	v_fma_f64 v[18:19], v[227:228], s[36:37], -v[18:19]
	s_waitcnt vmcnt(2)
	v_add_f64 v[12:13], v[12:13], v[22:23]
	v_mul_f64 v[22:23], v[231:232], s[62:63]
	v_add_f64 v[26:27], v[50:51], v[197:198]
	v_add_f64 v[14:15], v[48:49], v[14:15]
	v_mul_f64 v[197:198], v[249:250], s[54:55]
	v_fma_f64 v[48:49], v[237:238], s[28:29], v[211:212]
	v_add_f64 v[20:21], v[54:55], v[20:21]
	s_waitcnt vmcnt(0)
	v_add_f64 v[50:51], v[166:167], v[28:29]
	v_mul_f64 v[28:29], v[245:246], s[38:39]
	v_fma_f64 v[30:31], v[225:226], s[36:37], -v[22:23]
	v_add_f64 v[24:25], v[24:25], v[26:27]
	v_add_f64 v[12:13], v[12:13], v[14:15]
	v_mul_f64 v[14:15], v[164:165], s[46:47]
	v_fma_f64 v[26:27], v[251:252], s[8:9], v[197:198]
	v_add_f64 v[20:21], v[48:49], v[20:21]
	v_add_f64 v[166:167], v[6:7], v[8:9]
	v_fma_f64 v[48:49], v[233:234], s[28:29], -v[28:29]
	v_add_f64 v[24:25], v[30:31], v[24:25]
	buffer_load_dword v30, off, s[64:67], 0 offset:264 ; 4-byte Folded Reload
	buffer_load_dword v31, off, s[64:67], 0 offset:268 ; 4-byte Folded Reload
	v_add_f64 v[12:13], v[50:51], v[12:13]
	v_add_f64 v[50:51], v[10:11], v[0:1]
	;; [unrolled: 1-line block ×3, first 2 shown]
	v_fma_f64 v[0:1], v[201:202], s[16:17], -v[52:53]
	v_fma_f64 v[10:11], v[241:242], s[30:31], -v[14:15]
	v_add_f64 v[52:53], v[98:99], v[106:107]
	v_add_f64 v[24:25], v[48:49], v[24:25]
	v_mul_f64 v[26:27], v[229:230], s[46:47]
	v_add_f64 v[0:1], v[0:1], v[2:3]
	v_fma_f64 v[2:3], v[237:238], s[28:29], -v[211:212]
	v_add_f64 v[52:53], v[52:53], v[110:111]
	v_add_f64 v[8:9], v[32:33], v[24:25]
	v_fma_f64 v[24:25], v[199:200], s[16:17], v[182:183]
	v_mul_f64 v[32:33], v[217:218], s[58:59]
	v_fma_f64 v[6:7], v[239:240], s[30:31], -v[26:27]
	v_fma_f64 v[106:107], v[201:202], s[34:35], v[32:33]
	v_fma_f64 v[32:33], v[201:202], s[34:35], -v[32:33]
	s_waitcnt vmcnt(0)
	v_add_f64 v[16:17], v[16:17], v[30:31]
	v_fma_f64 v[30:31], v[241:242], s[30:31], v[14:15]
	v_fma_f64 v[14:15], v[251:252], s[8:9], -v[197:198]
	v_mov_b32_e32 v198, v35
	v_mov_b32_e32 v197, v34
	v_add_f64 v[48:49], v[16:17], v[12:13]
	v_add_f64 v[54:55], v[30:31], v[20:21]
	v_fma_f64 v[12:13], v[193:194], s[34:35], v[170:171]
	v_mul_f64 v[20:21], v[205:206], s[40:41]
	v_fma_f64 v[16:17], v[209:210], s[20:21], -v[178:179]
	v_fma_f64 v[30:31], v[219:220], s[22:23], -v[203:204]
	v_add_f64 v[12:13], v[96:97], v[12:13]
	v_fma_f64 v[34:35], v[195:196], s[30:31], v[20:21]
	v_add_f64 v[0:1], v[16:17], v[0:1]
	v_fma_f64 v[16:17], v[207:208], s[20:21], v[180:181]
	v_fma_f64 v[20:21], v[195:196], s[30:31], -v[20:21]
	buffer_load_dword v178, off, s[64:67], 0 offset:216 ; 4-byte Folded Reload
	buffer_load_dword v179, off, s[64:67], 0 offset:220 ; 4-byte Folded Reload
	;; [unrolled: 1-line block ×4, first 2 shown]
	v_add_f64 v[12:13], v[24:25], v[12:13]
	v_mul_f64 v[24:25], v[213:214], s[10:11]
	v_add_f64 v[34:35], v[98:99], v[34:35]
	v_add_f64 v[0:1], v[30:31], v[0:1]
	v_fma_f64 v[30:31], v[215:216], s[22:23], v[176:177]
	v_add_f64 v[20:21], v[98:99], v[20:21]
	v_add_f64 v[12:13], v[16:17], v[12:13]
	v_mul_f64 v[16:17], v[223:224], s[18:19]
	v_fma_f64 v[108:109], v[209:210], s[8:9], v[24:25]
	v_add_f64 v[34:35], v[106:107], v[34:35]
	v_add_f64 v[0:1], v[18:19], v[0:1]
	v_fma_f64 v[18:19], v[225:226], s[36:37], v[22:23]
	v_add_f64 v[22:23], v[52:53], v[102:103]
	v_add_f64 v[52:53], v[104:105], v[100:101]
	;; [unrolled: 1-line block ×3, first 2 shown]
	v_mul_f64 v[30:31], v[235:236], s[52:53]
	v_fma_f64 v[100:101], v[219:220], s[16:17], v[16:17]
	v_add_f64 v[34:35], v[108:109], v[34:35]
	v_add_f64 v[0:1], v[2:3], v[0:1]
	v_fma_f64 v[2:3], v[233:234], s[28:29], v[28:29]
	v_add_f64 v[22:23], v[22:23], v[118:119]
	v_add_f64 v[28:29], v[52:53], v[116:117]
	v_mul_f64 v[108:109], v[221:222], s[58:59]
	v_fma_f64 v[52:53], v[227:228], s[28:29], v[30:31]
	v_fma_f64 v[24:25], v[209:210], s[8:9], -v[24:25]
	v_add_f64 v[34:35], v[100:101], v[34:35]
	v_add_f64 v[0:1], v[14:15], v[0:1]
	;; [unrolled: 1-line block ×5, first 2 shown]
	v_fma_f64 v[98:99], v[199:200], s[34:35], v[108:109]
	v_fma_f64 v[108:109], v[199:200], s[34:35], -v[108:109]
	v_mul_f64 v[106:107], v[66:67], s[18:19]
	v_add_f64 v[34:35], v[52:53], v[34:35]
	v_mul_f64 v[52:53], v[184:185], s[40:41]
	v_add_f64 v[100:101], v[10:11], v[0:1]
	v_add_f64 v[10:11], v[14:15], v[114:115]
	;; [unrolled: 1-line block ×3, first 2 shown]
	v_mul_f64 v[112:113], v[64:65], s[10:11]
	v_fma_f64 v[16:17], v[219:220], s[16:17], -v[16:17]
	v_add_f64 v[20:21], v[24:25], v[20:21]
	v_add_f64 v[12:13], v[18:19], v[12:13]
	v_fma_f64 v[110:111], v[193:194], s[30:31], v[52:53]
	v_fma_f64 v[52:53], v[193:194], s[30:31], -v[52:53]
	v_mul_f64 v[18:19], v[243:244], s[24:25]
	v_mul_f64 v[104:105], v[231:232], s[52:53]
	v_fma_f64 v[32:33], v[207:208], s[8:9], v[112:113]
	v_fma_f64 v[24:25], v[215:216], s[16:17], v[106:107]
	v_fma_f64 v[30:31], v[227:228], s[28:29], -v[30:31]
	v_add_f64 v[16:17], v[16:17], v[20:21]
	v_add_f64 v[110:111], v[96:97], v[110:111]
	;; [unrolled: 1-line block ×4, first 2 shown]
	v_mul_f64 v[12:13], v[249:250], s[42:43]
	v_fma_f64 v[28:29], v[237:238], s[20:21], v[18:19]
	v_mul_f64 v[102:103], v[245:246], s[24:25]
	v_fma_f64 v[20:21], v[225:226], s[28:29], v[104:105]
	v_fma_f64 v[18:19], v[237:238], s[20:21], -v[18:19]
	v_add_f64 v[96:97], v[98:99], v[110:111]
	v_fma_f64 v[98:99], v[207:208], s[8:9], -v[112:113]
	v_add_f64 v[52:53], v[108:109], v[52:53]
	v_add_f64 v[16:17], v[30:31], v[16:17]
	v_fma_f64 v[0:1], v[239:240], s[30:31], v[26:27]
	v_add_f64 v[22:23], v[4:5], v[2:3]
	v_mul_f64 v[2:3], v[164:165], s[26:27]
	v_fma_f64 v[4:5], v[251:252], s[36:37], v[12:13]
	v_add_f64 v[32:33], v[32:33], v[96:97]
	v_fma_f64 v[96:97], v[215:216], s[16:17], -v[106:107]
	v_add_f64 v[52:53], v[98:99], v[52:53]
	v_add_f64 v[26:27], v[28:29], v[34:35]
	v_mul_f64 v[34:35], v[253:254], s[42:43]
	v_fma_f64 v[30:31], v[233:234], s[20:21], v[102:103]
	v_fma_f64 v[12:13], v[251:252], s[36:37], -v[12:13]
	v_add_f64 v[16:17], v[18:19], v[16:17]
	v_add_f64 v[24:25], v[24:25], v[32:33]
	v_fma_f64 v[32:33], v[225:226], s[28:29], -v[104:105]
	v_add_f64 v[52:53], v[96:97], v[52:53]
	buffer_load_dword v64, off, s[64:67], 0 offset:128 ; 4-byte Folded Reload
	buffer_load_dword v65, off, s[64:67], 0 offset:132 ; 4-byte Folded Reload
	;; [unrolled: 1-line block ×4, first 2 shown]
	v_add_f64 v[26:27], v[4:5], v[26:27]
	v_add_f64 v[10:11], v[10:11], v[126:127]
	;; [unrolled: 1-line block ×5, first 2 shown]
	v_fma_f64 v[24:25], v[233:234], s[20:21], -v[102:103]
	v_add_f64 v[32:33], v[32:33], v[52:53]
	v_mul_f64 v[28:29], v[229:230], s[26:27]
	v_fma_f64 v[18:19], v[247:248], s[36:37], v[34:35]
	v_add_f64 v[10:11], v[10:11], v[130:131]
	v_add_f64 v[14:15], v[14:15], v[128:129]
	;; [unrolled: 1-line block ×4, first 2 shown]
	v_fma_f64 v[30:31], v[247:248], s[36:37], -v[34:35]
	v_add_f64 v[24:25], v[24:25], v[32:33]
	v_fma_f64 v[32:33], v[241:242], s[22:23], -v[2:3]
	v_fma_f64 v[16:17], v[239:240], s[22:23], v[28:29]
	v_add_f64 v[10:11], v[10:11], v[134:135]
	v_add_f64 v[14:15], v[14:15], v[132:133]
	v_mul_lo_u16_e32 v0, 17, v198
	v_add_f64 v[18:19], v[18:19], v[20:21]
	v_fma_f64 v[20:21], v[241:242], s[22:23], v[2:3]
	v_add_f64 v[24:25], v[30:31], v[24:25]
	v_add_f64 v[4:5], v[32:33], v[12:13]
	v_mov_b32_e32 v30, v36
	v_mov_b32_e32 v31, v37
	;; [unrolled: 1-line block ×12, first 2 shown]
	buffer_load_dword v56, off, s[64:67], 0 ; 4-byte Folded Reload
	buffer_load_dword v57, off, s[64:67], 0 offset:4 ; 4-byte Folded Reload
	buffer_load_dword v58, off, s[64:67], 0 offset:8 ; 4-byte Folded Reload
	;; [unrolled: 1-line block ×3, first 2 shown]
	v_add_f64 v[10:11], v[10:11], v[138:139]
	v_add_f64 v[14:15], v[14:15], v[136:137]
	v_add_f64 v[2:3], v[16:17], v[18:19]
	v_lshlrev_b32_e32 v0, 4, v0
	v_fma_f64 v[28:29], v[239:240], s[22:23], -v[28:29]
	v_add_f64 v[52:53], v[6:7], v[8:9]
	v_add_f64 v[108:109], v[20:21], v[26:27]
	v_add_f64 v[10:11], v[10:11], v[142:143]
	v_add_f64 v[14:15], v[14:15], v[140:141]
	v_add_f64 v[106:107], v[28:29], v[24:25]
	v_mov_b32_e32 v26, v60
	v_mov_b32_e32 v27, v61
	;; [unrolled: 1-line block ×3, first 2 shown]
	v_add_f64 v[10:11], v[10:11], v[146:147]
	v_add_f64 v[14:15], v[14:15], v[144:145]
	v_mov_b32_e32 v29, v63
	v_add_f64 v[10:11], v[10:11], v[150:151]
	v_add_f64 v[14:15], v[14:15], v[148:149]
	;; [unrolled: 1-line block ×4, first 2 shown]
	s_waitcnt vmcnt(4)
	v_add_f64 v[10:11], v[10:11], v[66:67]
	v_add_f64 v[14:15], v[14:15], v[64:65]
	s_waitcnt vmcnt(0)
	v_add_f64 v[104:105], v[10:11], v[58:59]
	v_add_f64 v[102:103], v[14:15], v[56:57]
	ds_write_b128 v0, v[102:105]
	ds_write_b128 v0, v[2:5] offset:16
	ds_write_b128 v0, v[98:101] offset:32
	;; [unrolled: 1-line block ×5, first 2 shown]
	buffer_load_dword v1, off, s[64:67], 0 offset:472 ; 4-byte Folded Reload
	buffer_load_dword v2, off, s[64:67], 0 offset:476 ; 4-byte Folded Reload
	buffer_load_dword v3, off, s[64:67], 0 offset:480 ; 4-byte Folded Reload
	buffer_load_dword v4, off, s[64:67], 0 offset:484 ; 4-byte Folded Reload
	s_waitcnt vmcnt(0)
	ds_write_b128 v0, v[1:4] offset:96
	buffer_load_dword v1, off, s[64:67], 0 offset:384 ; 4-byte Folded Reload
	buffer_load_dword v2, off, s[64:67], 0 offset:388 ; 4-byte Folded Reload
	buffer_load_dword v3, off, s[64:67], 0 offset:392 ; 4-byte Folded Reload
	buffer_load_dword v4, off, s[64:67], 0 offset:396 ; 4-byte Folded Reload
	s_waitcnt vmcnt(0)
	ds_write_b128 v0, v[1:4] offset:112
	;; [unrolled: 6-line block ×6, first 2 shown]
	ds_write_b128 v0, v[188:191] offset:192
	ds_write_b128 v0, v[160:163] offset:208
	;; [unrolled: 1-line block ×5, first 2 shown]
.LBB0_17:
	s_or_b64 exec, exec, s[44:45]
	s_waitcnt lgkmcnt(0)
	; wave barrier
	s_waitcnt lgkmcnt(0)
	ds_read_b128 v[0:3], v255 offset:816
	ds_read_b128 v[4:7], v255 offset:1632
	ds_read_b128 v[48:51], v255
	ds_read_b128 v[52:55], v255 offset:2448
	s_mov_b32 s16, 0x4267c47c
	s_mov_b32 s8, 0xe00740e9
	s_waitcnt lgkmcnt(2)
	v_mul_f64 v[12:13], v[28:29], v[6:7]
	v_mul_f64 v[8:9], v[46:47], v[2:3]
	v_mul_f64 v[10:11], v[46:47], v[0:1]
	v_mul_f64 v[14:15], v[28:29], v[4:5]
	s_mov_b32 s22, 0x42a4c3d2
	s_mov_b32 s10, 0x66966769
	;; [unrolled: 1-line block ×4, first 2 shown]
	v_fma_f64 v[24:25], v[26:27], v[4:5], v[12:13]
	v_fma_f64 v[18:19], v[44:45], v[0:1], v[8:9]
	v_fma_f64 v[22:23], v[44:45], v[2:3], -v[10:11]
	ds_read_b128 v[0:3], v255 offset:3264
	ds_read_b128 v[58:61], v255 offset:4080
	v_fma_f64 v[26:27], v[26:27], v[6:7], -v[14:15]
	ds_read_b128 v[4:7], v255 offset:4896
	ds_read_b128 v[96:99], v255 offset:5712
	buffer_load_dword v104, off, s[64:67], 0 offset:16 ; 4-byte Folded Reload
	buffer_load_dword v105, off, s[64:67], 0 offset:20 ; 4-byte Folded Reload
	;; [unrolled: 1-line block ×4, first 2 shown]
	s_waitcnt lgkmcnt(4)
	v_mul_f64 v[8:9], v[32:33], v[54:55]
	v_mul_f64 v[10:11], v[32:33], v[52:53]
	v_add_f64 v[12:13], v[48:49], v[18:19]
	v_add_f64 v[14:15], v[50:51], v[22:23]
	s_waitcnt lgkmcnt(2)
	v_mul_f64 v[32:33], v[42:43], v[58:59]
	s_waitcnt lgkmcnt(1)
	v_mul_f64 v[56:57], v[38:39], v[4:5]
	s_mov_b32 s40, 0xd0032e0c
	s_mov_b32 s44, 0x4bc48dbf
	v_fma_f64 v[28:29], v[30:31], v[52:53], v[8:9]
	v_fma_f64 v[30:31], v[30:31], v[54:55], -v[10:11]
	v_add_f64 v[8:9], v[12:13], v[24:25]
	v_mul_f64 v[12:13], v[42:43], v[60:61]
	v_add_f64 v[10:11], v[14:15], v[26:27]
	ds_read_b128 v[52:55], v255 offset:6528
	ds_read_b128 v[100:103], v255 offset:7344
	s_mov_b32 s17, 0xbfddbe06
	s_mov_b32 s9, 0x3fec55a7
	;; [unrolled: 1-line block ×3, first 2 shown]
	s_waitcnt lgkmcnt(1)
	v_mul_f64 v[44:45], v[180:181], v[54:55]
	v_add_f64 v[8:9], v[8:9], v[28:29]
	v_fma_f64 v[14:15], v[40:41], v[58:59], v[12:13]
	v_add_f64 v[10:11], v[10:11], v[30:31]
	s_mov_b32 s11, 0xbfefc445
	s_mov_b32 s29, 0xbfedeba7
	s_mov_b32 s39, 0xbfe5384d
	s_mov_b32 s41, 0xbfe7f3cc
	s_mov_b32 s45, 0xbfcea1e5
	s_mov_b32 s24, 0x1ea71119
	s_mov_b32 s18, 0xebaa3ed8
	s_mov_b32 s34, 0xb2365da1
	s_mov_b32 s46, 0x93053d00
	s_mov_b32 s31, 0x3fddbe06
	s_mov_b32 s30, s16
	s_mov_b32 s25, 0x3fe22d96
	s_mov_b32 s19, 0x3fbedb7d
	s_mov_b32 s35, 0xbfd6b1d8
	s_mov_b32 s43, 0x3fe5384d
	s_mov_b32 s42, s38
	s_mov_b32 s47, 0xbfef11f4
	s_mov_b32 s27, 0x3fea55e2
	s_mov_b32 s26, s22
	s_mov_b32 s21, 0x3fefc445
	s_mov_b32 s20, s10
	s_mov_b32 s37, 0x3fedeba7
	s_mov_b32 s36, s28
	s_mov_b32 s49, 0x3fcea1e5
	s_mov_b32 s48, s44
	s_waitcnt vmcnt(0)
	v_mul_f64 v[16:17], v[106:107], v[2:3]
	v_mul_f64 v[20:21], v[106:107], v[0:1]
	v_fma_f64 v[34:35], v[104:105], v[0:1], v[16:17]
	v_mul_f64 v[16:17], v[38:39], v[6:7]
	v_fma_f64 v[46:47], v[104:105], v[2:3], -v[20:21]
	ds_read_b128 v[0:3], v255 offset:8160
	ds_read_b128 v[104:107], v255 offset:8976
	;; [unrolled: 1-line block ×3, first 2 shown]
	v_fma_f64 v[20:21], v[40:41], v[60:61], -v[32:33]
	buffer_load_dword v58, off, s[64:67], 0 offset:32 ; 4-byte Folded Reload
	buffer_load_dword v59, off, s[64:67], 0 offset:36 ; 4-byte Folded Reload
	;; [unrolled: 1-line block ×4, first 2 shown]
	v_fma_f64 v[6:7], v[36:37], v[6:7], -v[56:57]
	buffer_load_dword v40, off, s[64:67], 0 offset:96 ; 4-byte Folded Reload
	buffer_load_dword v41, off, s[64:67], 0 offset:100 ; 4-byte Folded Reload
	;; [unrolled: 1-line block ×4, first 2 shown]
	v_add_f64 v[8:9], v[8:9], v[34:35]
	v_fma_f64 v[4:5], v[36:37], v[4:5], v[16:17]
	buffer_load_dword v36, off, s[64:67], 0 offset:80 ; 4-byte Folded Reload
	buffer_load_dword v37, off, s[64:67], 0 offset:84 ; 4-byte Folded Reload
	;; [unrolled: 1-line block ×4, first 2 shown]
	v_add_f64 v[10:11], v[10:11], v[46:47]
	v_mul_f64 v[56:57], v[180:181], v[52:53]
	buffer_load_dword v114, off, s[64:67], 0 offset:64 ; 4-byte Folded Reload
	buffer_load_dword v115, off, s[64:67], 0 offset:68 ; 4-byte Folded Reload
	;; [unrolled: 1-line block ×4, first 2 shown]
	v_add_f64 v[8:9], v[8:9], v[14:15]
	v_add_f64 v[16:17], v[10:11], v[20:21]
	s_waitcnt vmcnt(12)
	v_mul_f64 v[12:13], v[60:61], v[98:99]
	v_mul_f64 v[32:33], v[60:61], v[96:97]
	s_waitcnt vmcnt(8) lgkmcnt(3)
	v_mul_f64 v[60:61], v[42:43], v[102:103]
	v_mul_f64 v[42:43], v[42:43], v[100:101]
	s_waitcnt vmcnt(4) lgkmcnt(0)
	v_mul_f64 v[62:63], v[38:39], v[108:109]
	v_mul_f64 v[38:39], v[38:39], v[110:111]
	v_fma_f64 v[10:11], v[58:59], v[96:97], v[12:13]
	v_fma_f64 v[12:13], v[58:59], v[98:99], -v[32:33]
	v_add_f64 v[32:33], v[8:9], v[4:5]
	v_fma_f64 v[8:9], v[178:179], v[54:55], -v[56:57]
	v_add_f64 v[58:59], v[16:17], v[6:7]
	v_fma_f64 v[54:55], v[36:37], v[110:111], -v[62:63]
	buffer_load_dword v110, off, s[64:67], 0 offset:48 ; 4-byte Folded Reload
	buffer_load_dword v111, off, s[64:67], 0 offset:52 ; 4-byte Folded Reload
	;; [unrolled: 1-line block ×4, first 2 shown]
	v_fma_f64 v[16:17], v[178:179], v[52:53], v[44:45]
	s_waitcnt vmcnt(4)
	v_mul_f64 v[96:97], v[116:117], v[2:3]
	v_mul_f64 v[52:53], v[116:117], v[0:1]
	v_add_f64 v[32:33], v[32:33], v[10:11]
	v_fma_f64 v[36:37], v[36:37], v[108:109], v[38:39]
	v_add_f64 v[44:45], v[58:59], v[12:13]
	v_fma_f64 v[58:59], v[40:41], v[100:101], v[60:61]
	v_fma_f64 v[40:41], v[40:41], v[102:103], -v[42:43]
	v_fma_f64 v[60:61], v[114:115], v[0:1], v[96:97]
	v_fma_f64 v[52:53], v[114:115], v[2:3], -v[52:53]
	v_add_f64 v[32:33], v[32:33], v[16:17]
	; wave barrier
	v_add_f64 v[42:43], v[44:45], v[8:9]
	v_add_f64 v[44:45], v[22:23], -v[54:55]
	v_add_f64 v[22:23], v[22:23], v[54:55]
	v_add_f64 v[0:1], v[32:33], v[58:59]
	;; [unrolled: 1-line block ×4, first 2 shown]
	v_add_f64 v[18:19], v[18:19], -v[36:37]
	v_mul_f64 v[42:43], v[44:45], s[16:17]
	v_mul_f64 v[62:63], v[22:23], s[8:9]
	;; [unrolled: 1-line block ×4, first 2 shown]
	v_add_f64 v[0:1], v[0:1], v[60:61]
	v_mul_f64 v[118:119], v[44:45], s[38:39]
	v_add_f64 v[2:3], v[2:3], v[52:53]
	v_mul_f64 v[120:121], v[22:23], s[40:41]
	v_fma_f64 v[96:97], v[32:33], s[8:9], v[42:43]
	v_fma_f64 v[98:99], v[18:19], s[30:31], v[62:63]
	v_fma_f64 v[42:43], v[32:33], s[8:9], -v[42:43]
	v_fma_f64 v[108:109], v[32:33], s[18:19], v[102:103]
	v_fma_f64 v[102:103], v[32:33], s[18:19], -v[102:103]
	v_mul_f64 v[116:117], v[22:23], s[34:35]
	v_fma_f64 v[124:125], v[32:33], s[40:41], v[118:119]
	v_fma_f64 v[126:127], v[18:19], s[42:43], v[120:121]
	v_fma_f64 v[118:119], v[32:33], s[40:41], -v[118:119]
	v_fma_f64 v[120:121], v[18:19], s[38:39], v[120:121]
	v_fma_f64 v[62:63], v[18:19], s[16:17], v[62:63]
	v_add_f64 v[96:97], v[48:49], v[96:97]
	v_add_f64 v[98:99], v[50:51], v[98:99]
	;; [unrolled: 1-line block ×4, first 2 shown]
	v_fma_f64 v[122:123], v[18:19], s[36:37], v[116:117]
	v_fma_f64 v[116:117], v[18:19], s[28:29], v[116:117]
	v_add_f64 v[102:103], v[48:49], v[102:103]
	v_add_f64 v[124:125], v[48:49], v[124:125]
	;; [unrolled: 1-line block ×6, first 2 shown]
	s_waitcnt vmcnt(0)
	v_mul_f64 v[56:57], v[112:113], v[106:107]
	v_mul_f64 v[38:39], v[112:113], v[104:105]
	;; [unrolled: 1-line block ×4, first 2 shown]
	v_fma_f64 v[56:57], v[110:111], v[104:105], v[56:57]
	v_fma_f64 v[38:39], v[110:111], v[106:107], -v[38:39]
	v_mul_f64 v[104:105], v[22:23], s[18:19]
	v_fma_f64 v[114:115], v[32:33], s[34:35], v[112:113]
	v_fma_f64 v[112:113], v[32:33], s[34:35], -v[112:113]
	v_add_f64 v[0:1], v[0:1], v[56:57]
	v_add_f64 v[2:3], v[2:3], v[38:39]
	;; [unrolled: 1-line block ×3, first 2 shown]
	v_add_f64 v[26:27], v[26:27], -v[38:39]
	v_fma_f64 v[38:39], v[32:33], s[46:47], v[44:45]
	v_add_f64 v[130:131], v[24:25], v[56:57]
	v_add_f64 v[24:25], v[24:25], -v[56:57]
	v_fma_f64 v[110:111], v[18:19], s[20:21], v[104:105]
	v_add_f64 v[0:1], v[0:1], v[36:37]
	v_add_f64 v[2:3], v[2:3], v[54:55]
	v_fma_f64 v[36:37], v[32:33], s[24:25], v[100:101]
	v_mul_f64 v[54:55], v[22:23], s[24:25]
	v_fma_f64 v[100:101], v[32:33], s[24:25], -v[100:101]
	v_mul_f64 v[22:23], v[22:23], s[46:47]
	v_mul_f64 v[56:57], v[26:27], s[22:23]
	;; [unrolled: 1-line block ×3, first 2 shown]
	v_fma_f64 v[32:33], v[32:33], s[46:47], -v[44:45]
	v_fma_f64 v[104:105], v[18:19], s[10:11], v[104:105]
	v_add_f64 v[36:37], v[48:49], v[36:37]
	v_fma_f64 v[106:107], v[18:19], s[26:27], v[54:55]
	v_fma_f64 v[54:55], v[18:19], s[22:23], v[54:55]
	v_add_f64 v[100:101], v[48:49], v[100:101]
	v_add_f64 v[114:115], v[48:49], v[114:115]
	;; [unrolled: 1-line block ×3, first 2 shown]
	v_fma_f64 v[134:135], v[18:19], s[48:49], v[22:23]
	v_fma_f64 v[18:19], v[18:19], s[44:45], v[22:23]
	v_add_f64 v[22:23], v[48:49], v[118:119]
	v_add_f64 v[44:45], v[50:51], v[120:121]
	v_fma_f64 v[118:119], v[130:131], s[24:25], v[56:57]
	v_fma_f64 v[120:121], v[24:25], s[26:27], v[132:133]
	v_add_f64 v[38:39], v[48:49], v[38:39]
	v_add_f64 v[32:33], v[48:49], v[32:33]
	v_mul_f64 v[48:49], v[26:27], s[28:29]
	v_add_f64 v[106:107], v[50:51], v[106:107]
	v_add_f64 v[54:55], v[50:51], v[54:55]
	;; [unrolled: 1-line block ×6, first 2 shown]
	v_mul_f64 v[50:51], v[128:129], s[34:35]
	v_add_f64 v[96:97], v[118:119], v[96:97]
	v_add_f64 v[98:99], v[120:121], v[98:99]
	v_fma_f64 v[56:57], v[130:131], s[24:25], -v[56:57]
	v_fma_f64 v[118:119], v[24:25], s[22:23], v[132:133]
	v_mul_f64 v[120:121], v[26:27], s[44:45]
	v_mul_f64 v[132:133], v[128:129], s[46:47]
	v_fma_f64 v[136:137], v[130:131], s[34:35], v[48:49]
	v_fma_f64 v[48:49], v[130:131], s[34:35], -v[48:49]
	v_fma_f64 v[138:139], v[24:25], s[36:37], v[50:51]
	v_fma_f64 v[50:51], v[24:25], s[28:29], v[50:51]
	v_add_f64 v[42:43], v[56:57], v[42:43]
	v_add_f64 v[56:57], v[118:119], v[62:63]
	v_fma_f64 v[62:63], v[130:131], s[46:47], v[120:121]
	v_fma_f64 v[118:119], v[24:25], s[48:49], v[132:133]
	v_fma_f64 v[120:121], v[130:131], s[46:47], -v[120:121]
	v_add_f64 v[48:49], v[48:49], v[100:101]
	v_mul_f64 v[100:101], v[128:129], s[40:41]
	v_add_f64 v[106:107], v[138:139], v[106:107]
	v_add_f64 v[50:51], v[50:51], v[54:55]
	v_mul_f64 v[54:55], v[26:27], s[42:43]
	v_add_f64 v[62:63], v[62:63], v[108:109]
	v_add_f64 v[108:109], v[118:119], v[110:111]
	v_mul_f64 v[110:111], v[26:27], s[20:21]
	v_mul_f64 v[118:119], v[128:129], s[18:19]
	v_fma_f64 v[138:139], v[24:25], s[38:39], v[100:101]
	v_add_f64 v[36:37], v[136:137], v[36:37]
	v_fma_f64 v[100:101], v[24:25], s[42:43], v[100:101]
	v_fma_f64 v[136:137], v[130:131], s[40:41], v[54:55]
	v_fma_f64 v[54:55], v[130:131], s[40:41], -v[54:55]
	v_add_f64 v[102:103], v[120:121], v[102:103]
	v_fma_f64 v[140:141], v[130:131], s[18:19], v[110:111]
	v_fma_f64 v[142:143], v[24:25], s[10:11], v[118:119]
	v_add_f64 v[120:121], v[138:139], v[122:123]
	v_add_f64 v[122:123], v[30:31], -v[52:53]
	v_add_f64 v[30:31], v[30:31], v[52:53]
	v_fma_f64 v[132:133], v[24:25], s[44:45], v[132:133]
	v_add_f64 v[54:55], v[54:55], v[112:113]
	v_add_f64 v[100:101], v[100:101], v[116:117]
	;; [unrolled: 1-line block ×4, first 2 shown]
	v_mul_f64 v[52:53], v[128:129], s[8:9]
	v_fma_f64 v[110:111], v[130:131], s[18:19], -v[110:111]
	v_add_f64 v[124:125], v[28:29], v[60:61]
	v_add_f64 v[28:29], v[28:29], -v[60:61]
	v_mul_f64 v[60:61], v[122:123], s[10:11]
	v_mul_f64 v[126:127], v[30:31], s[18:19]
	v_add_f64 v[104:105], v[132:133], v[104:105]
	v_mul_f64 v[26:27], v[26:27], s[30:31]
	v_fma_f64 v[118:119], v[24:25], s[20:21], v[118:119]
	v_fma_f64 v[132:133], v[24:25], s[16:17], v[52:53]
	;; [unrolled: 1-line block ×3, first 2 shown]
	v_add_f64 v[22:23], v[110:111], v[22:23]
	v_fma_f64 v[52:53], v[124:125], s[18:19], v[60:61]
	v_fma_f64 v[110:111], v[28:29], s[20:21], v[126:127]
	v_fma_f64 v[60:61], v[124:125], s[18:19], -v[60:61]
	v_fma_f64 v[128:129], v[130:131], s[8:9], v[26:27]
	v_fma_f64 v[26:27], v[130:131], s[8:9], -v[26:27]
	v_add_f64 v[44:45], v[118:119], v[44:45]
	v_add_f64 v[18:19], v[24:25], v[18:19]
	v_mul_f64 v[24:25], v[122:123], s[44:45]
	v_add_f64 v[52:53], v[52:53], v[96:97]
	v_add_f64 v[96:97], v[110:111], v[98:99]
	v_fma_f64 v[98:99], v[28:29], s[10:11], v[126:127]
	v_mul_f64 v[110:111], v[122:123], s[36:37]
	v_mul_f64 v[126:127], v[30:31], s[34:35]
	v_add_f64 v[38:39], v[128:129], v[38:39]
	v_add_f64 v[26:27], v[26:27], v[32:33]
	v_mul_f64 v[32:33], v[30:31], s[46:47]
	v_fma_f64 v[128:129], v[124:125], s[46:47], v[24:25]
	v_fma_f64 v[24:25], v[124:125], s[46:47], -v[24:25]
	v_add_f64 v[42:43], v[60:61], v[42:43]
	v_add_f64 v[56:57], v[98:99], v[56:57]
	v_fma_f64 v[60:61], v[124:125], s[34:35], v[110:111]
	v_fma_f64 v[98:99], v[28:29], s[28:29], v[126:127]
	v_add_f64 v[118:119], v[132:133], v[134:135]
	v_fma_f64 v[130:131], v[28:29], s[48:49], v[32:33]
	v_fma_f64 v[32:33], v[28:29], s[44:45], v[32:33]
	v_add_f64 v[24:25], v[24:25], v[48:49]
	v_mul_f64 v[48:49], v[122:123], s[30:31]
	v_add_f64 v[36:37], v[128:129], v[36:37]
	v_add_f64 v[60:61], v[60:61], v[62:63]
	;; [unrolled: 1-line block ×3, first 2 shown]
	v_mul_f64 v[98:99], v[122:123], s[22:23]
	v_mul_f64 v[108:109], v[30:31], s[24:25]
	v_add_f64 v[32:33], v[32:33], v[50:51]
	v_mul_f64 v[50:51], v[30:31], s[8:9]
	v_fma_f64 v[128:129], v[124:125], s[8:9], v[48:49]
	v_fma_f64 v[48:49], v[124:125], s[8:9], -v[48:49]
	v_add_f64 v[114:115], v[136:137], v[114:115]
	v_add_f64 v[106:107], v[130:131], v[106:107]
	v_fma_f64 v[132:133], v[124:125], s[24:25], v[98:99]
	v_fma_f64 v[110:111], v[124:125], s[34:35], -v[110:111]
	v_fma_f64 v[134:135], v[28:29], s[26:27], v[108:109]
	v_fma_f64 v[130:131], v[28:29], s[16:17], v[50:51]
	;; [unrolled: 1-line block ×3, first 2 shown]
	v_add_f64 v[48:49], v[48:49], v[54:55]
	v_fma_f64 v[126:127], v[28:29], s[36:37], v[126:127]
	v_mul_f64 v[30:31], v[30:31], s[40:41]
	v_add_f64 v[54:55], v[132:133], v[112:113]
	v_add_f64 v[112:113], v[46:47], -v[40:41]
	v_add_f64 v[40:41], v[46:47], v[40:41]
	v_add_f64 v[102:103], v[110:111], v[102:103]
	v_add_f64 v[110:111], v[128:129], v[114:115]
	v_add_f64 v[114:115], v[130:131], v[120:121]
	v_add_f64 v[50:51], v[50:51], v[100:101]
	v_add_f64 v[100:101], v[134:135], v[116:117]
	v_mul_f64 v[46:47], v[122:123], s[38:39]
	v_fma_f64 v[98:99], v[124:125], s[24:25], -v[98:99]
	v_fma_f64 v[108:109], v[28:29], s[22:23], v[108:109]
	v_add_f64 v[116:117], v[34:35], v[58:59]
	v_add_f64 v[34:35], v[34:35], -v[58:59]
	v_mul_f64 v[58:59], v[112:113], s[28:29]
	v_mul_f64 v[120:121], v[40:41], s[34:35]
	v_add_f64 v[104:105], v[126:127], v[104:105]
	v_fma_f64 v[122:123], v[124:125], s[40:41], v[46:47]
	v_fma_f64 v[126:127], v[28:29], s[42:43], v[30:31]
	v_fma_f64 v[46:47], v[124:125], s[40:41], -v[46:47]
	v_fma_f64 v[28:29], v[28:29], s[38:39], v[30:31]
	v_add_f64 v[22:23], v[98:99], v[22:23]
	v_add_f64 v[30:31], v[108:109], v[44:45]
	v_fma_f64 v[44:45], v[116:117], s[34:35], v[58:59]
	v_fma_f64 v[98:99], v[34:35], s[36:37], v[120:121]
	v_fma_f64 v[58:59], v[116:117], s[34:35], -v[58:59]
	v_add_f64 v[108:109], v[126:127], v[118:119]
	v_add_f64 v[26:27], v[46:47], v[26:27]
	;; [unrolled: 1-line block ×3, first 2 shown]
	v_mul_f64 v[28:29], v[112:113], s[42:43]
	v_mul_f64 v[46:47], v[40:41], s[40:41]
	v_add_f64 v[44:45], v[44:45], v[52:53]
	v_add_f64 v[52:53], v[98:99], v[96:97]
	v_fma_f64 v[96:97], v[34:35], s[28:29], v[120:121]
	v_mul_f64 v[98:99], v[112:113], s[30:31]
	v_mul_f64 v[118:119], v[40:41], s[8:9]
	v_add_f64 v[38:39], v[122:123], v[38:39]
	v_fma_f64 v[120:121], v[116:117], s[40:41], v[28:29]
	v_fma_f64 v[122:123], v[34:35], s[38:39], v[46:47]
	v_fma_f64 v[28:29], v[116:117], s[40:41], -v[28:29]
	v_fma_f64 v[46:47], v[34:35], s[42:43], v[46:47]
	v_add_f64 v[42:43], v[58:59], v[42:43]
	v_add_f64 v[56:57], v[96:97], v[56:57]
	v_fma_f64 v[58:59], v[116:117], s[8:9], v[98:99]
	v_fma_f64 v[96:97], v[34:35], s[16:17], v[118:119]
	v_add_f64 v[36:37], v[120:121], v[36:37]
	v_add_f64 v[106:107], v[122:123], v[106:107]
	;; [unrolled: 1-line block ×4, first 2 shown]
	v_mul_f64 v[46:47], v[40:41], s[18:19]
	v_mul_f64 v[32:33], v[112:113], s[10:11]
	v_add_f64 v[58:59], v[58:59], v[60:61]
	v_add_f64 v[60:61], v[96:97], v[62:63]
	v_fma_f64 v[62:63], v[116:117], s[8:9], -v[98:99]
	v_fma_f64 v[96:97], v[34:35], s[30:31], v[118:119]
	v_mul_f64 v[98:99], v[112:113], s[48:49]
	v_mul_f64 v[118:119], v[40:41], s[46:47]
	v_fma_f64 v[122:123], v[34:35], s[20:21], v[46:47]
	v_fma_f64 v[46:47], v[34:35], s[10:11], v[46:47]
	;; [unrolled: 1-line block ×3, first 2 shown]
	v_fma_f64 v[32:33], v[116:117], s[18:19], -v[32:33]
	v_add_f64 v[62:63], v[62:63], v[102:103]
	v_add_f64 v[96:97], v[96:97], v[104:105]
	v_fma_f64 v[102:103], v[116:117], s[46:47], v[98:99]
	v_fma_f64 v[104:105], v[34:35], s[44:45], v[118:119]
	v_mul_f64 v[40:41], v[40:41], s[24:25]
	v_add_f64 v[46:47], v[46:47], v[50:51]
	v_add_f64 v[110:111], v[120:121], v[110:111]
	;; [unrolled: 1-line block ×3, first 2 shown]
	v_mul_f64 v[48:49], v[112:113], s[26:27]
	v_add_f64 v[112:113], v[14:15], v[16:17]
	v_add_f64 v[50:51], v[102:103], v[54:55]
	;; [unrolled: 1-line block ×3, first 2 shown]
	v_add_f64 v[100:101], v[20:21], -v[8:9]
	v_add_f64 v[8:9], v[20:21], v[8:9]
	v_fma_f64 v[20:21], v[116:117], s[46:47], -v[98:99]
	v_fma_f64 v[98:99], v[34:35], s[48:49], v[118:119]
	v_add_f64 v[14:15], v[14:15], -v[16:17]
	v_fma_f64 v[102:103], v[116:117], s[24:25], v[48:49]
	v_fma_f64 v[104:105], v[34:35], s[22:23], v[40:41]
	v_fma_f64 v[48:49], v[116:117], s[24:25], -v[48:49]
	v_mul_f64 v[16:17], v[100:101], s[38:39]
	v_mul_f64 v[118:119], v[8:9], s[40:41]
	v_fma_f64 v[34:35], v[34:35], s[26:27], v[40:41]
	v_add_f64 v[20:21], v[20:21], v[22:23]
	v_add_f64 v[22:23], v[98:99], v[30:31]
	;; [unrolled: 1-line block ×5, first 2 shown]
	v_fma_f64 v[40:41], v[112:113], s[40:41], v[16:17]
	v_fma_f64 v[98:99], v[14:15], s[42:43], v[118:119]
	v_add_f64 v[18:19], v[34:35], v[18:19]
	v_mul_f64 v[34:35], v[100:101], s[20:21]
	v_mul_f64 v[48:49], v[8:9], s[18:19]
	v_fma_f64 v[16:17], v[112:113], s[40:41], -v[16:17]
	v_fma_f64 v[102:103], v[14:15], s[38:39], v[118:119]
	v_add_f64 v[114:115], v[122:123], v[114:115]
	v_add_f64 v[40:41], v[40:41], v[44:45]
	;; [unrolled: 1-line block ×3, first 2 shown]
	v_mul_f64 v[52:53], v[100:101], s[22:23]
	v_mul_f64 v[98:99], v[8:9], s[24:25]
	v_fma_f64 v[104:105], v[112:113], s[18:19], v[34:35]
	v_fma_f64 v[108:109], v[14:15], s[10:11], v[48:49]
	v_add_f64 v[16:17], v[16:17], v[42:43]
	v_add_f64 v[42:43], v[102:103], v[56:57]
	v_fma_f64 v[34:35], v[112:113], s[18:19], -v[34:35]
	v_fma_f64 v[48:49], v[14:15], s[20:21], v[48:49]
	v_fma_f64 v[56:57], v[112:113], s[24:25], v[52:53]
	;; [unrolled: 1-line block ×3, first 2 shown]
	v_fma_f64 v[52:53], v[112:113], s[24:25], -v[52:53]
	v_add_f64 v[36:37], v[104:105], v[36:37]
	v_add_f64 v[104:105], v[108:109], v[106:107]
	v_mul_f64 v[106:107], v[100:101], s[48:49]
	v_add_f64 v[24:25], v[34:35], v[24:25]
	v_add_f64 v[28:29], v[48:49], v[28:29]
	;; [unrolled: 1-line block ×4, first 2 shown]
	v_fma_f64 v[56:57], v[14:15], s[22:23], v[98:99]
	v_mul_f64 v[98:99], v[100:101], s[30:31]
	v_mul_f64 v[102:103], v[8:9], s[8:9]
	;; [unrolled: 1-line block ×3, first 2 shown]
	v_add_f64 v[52:53], v[52:53], v[62:63]
	v_mul_f64 v[100:101], v[100:101], s[28:29]
	v_fma_f64 v[58:59], v[112:113], s[46:47], v[106:107]
	v_fma_f64 v[106:107], v[112:113], s[46:47], -v[106:107]
	v_add_f64 v[56:57], v[56:57], v[96:97]
	v_fma_f64 v[62:63], v[112:113], s[8:9], v[98:99]
	v_fma_f64 v[96:97], v[14:15], s[16:17], v[102:103]
	;; [unrolled: 1-line block ×4, first 2 shown]
	v_fma_f64 v[98:99], v[112:113], s[8:9], -v[98:99]
	v_fma_f64 v[102:103], v[14:15], s[30:31], v[102:103]
	v_mul_f64 v[8:9], v[8:9], s[34:35]
	v_add_f64 v[32:33], v[106:107], v[32:33]
	v_add_f64 v[50:51], v[62:63], v[50:51]
	;; [unrolled: 1-line block ×3, first 2 shown]
	v_add_f64 v[62:63], v[6:7], -v[12:13]
	v_add_f64 v[96:97], v[6:7], v[12:13]
	v_fma_f64 v[6:7], v[112:113], s[34:35], v[100:101]
	v_add_f64 v[46:47], v[108:109], v[46:47]
	v_add_f64 v[98:99], v[98:99], v[20:21]
	;; [unrolled: 1-line block ×3, first 2 shown]
	v_fma_f64 v[12:13], v[14:15], s[36:37], v[8:9]
	v_add_f64 v[106:107], v[4:5], v[10:11]
	v_add_f64 v[108:109], v[4:5], -v[10:11]
	v_mul_f64 v[4:5], v[62:63], s[44:45]
	v_mul_f64 v[10:11], v[96:97], s[46:47]
	v_fma_f64 v[20:21], v[112:113], s[34:35], -v[100:101]
	v_fma_f64 v[8:9], v[14:15], s[28:29], v[8:9]
	v_add_f64 v[100:101], v[6:7], v[30:31]
	v_mul_f64 v[22:23], v[62:63], s[30:31]
	v_mul_f64 v[30:31], v[96:97], s[8:9]
	v_add_f64 v[58:59], v[58:59], v[110:111]
	v_add_f64 v[60:61], v[60:61], v[114:115]
	v_add_f64 v[110:111], v[12:13], v[38:39]
	v_fma_f64 v[6:7], v[106:107], s[46:47], v[4:5]
	v_fma_f64 v[12:13], v[108:109], s[48:49], v[10:11]
	v_add_f64 v[112:113], v[20:21], v[26:27]
	v_add_f64 v[114:115], v[8:9], v[18:19]
	v_fma_f64 v[4:5], v[106:107], s[46:47], -v[4:5]
	v_fma_f64 v[14:15], v[108:109], s[44:45], v[10:11]
	v_fma_f64 v[18:19], v[106:107], s[8:9], v[22:23]
	;; [unrolled: 1-line block ×3, first 2 shown]
	v_mul_f64 v[26:27], v[62:63], s[38:39]
	v_mul_f64 v[38:39], v[96:97], s[40:41]
	v_add_f64 v[8:9], v[6:7], v[40:41]
	v_add_f64 v[10:11], v[12:13], v[44:45]
	;; [unrolled: 1-line block ×6, first 2 shown]
	v_fma_f64 v[16:17], v[106:107], s[8:9], -v[22:23]
	v_fma_f64 v[18:19], v[108:109], s[30:31], v[30:31]
	v_fma_f64 v[20:21], v[106:107], s[40:41], v[26:27]
	;; [unrolled: 1-line block ×3, first 2 shown]
	v_mul_f64 v[30:31], v[62:63], s[26:27]
	v_mul_f64 v[36:37], v[96:97], s[24:25]
	v_fma_f64 v[26:27], v[106:107], s[40:41], -v[26:27]
	v_fma_f64 v[38:39], v[108:109], s[38:39], v[38:39]
	v_add_f64 v[16:17], v[16:17], v[24:25]
	v_mul_f64 v[40:41], v[62:63], s[28:29]
	v_add_f64 v[20:21], v[20:21], v[34:35]
	v_mul_f64 v[42:43], v[96:97], s[34:35]
	v_add_f64 v[22:23], v[22:23], v[48:49]
	v_fma_f64 v[34:35], v[108:109], s[22:23], v[36:37]
	v_add_f64 v[24:25], v[26:27], v[52:53]
	v_add_f64 v[26:27], v[38:39], v[56:57]
	v_fma_f64 v[38:39], v[106:107], s[24:25], -v[30:31]
	v_fma_f64 v[36:37], v[108:109], s[26:27], v[36:37]
	v_mul_f64 v[44:45], v[62:63], s[20:21]
	v_mul_f64 v[48:49], v[96:97], s[18:19]
	v_add_f64 v[18:19], v[18:19], v[28:29]
	v_fma_f64 v[28:29], v[106:107], s[24:25], v[30:31]
	v_add_f64 v[30:31], v[34:35], v[60:61]
	v_add_f64 v[32:33], v[38:39], v[32:33]
	;; [unrolled: 1-line block ×3, first 2 shown]
	v_fma_f64 v[36:37], v[106:107], s[34:35], v[40:41]
	v_fma_f64 v[38:39], v[108:109], s[36:37], v[42:43]
	;; [unrolled: 1-line block ×4, first 2 shown]
	v_add_f64 v[28:29], v[28:29], v[58:59]
	v_fma_f64 v[40:41], v[106:107], s[34:35], -v[40:41]
	v_fma_f64 v[42:43], v[108:109], s[28:29], v[42:43]
	v_fma_f64 v[56:57], v[106:107], s[18:19], -v[44:45]
	v_fma_f64 v[58:59], v[108:109], s[20:21], v[48:49]
	v_add_f64 v[36:37], v[36:37], v[50:51]
	v_add_f64 v[38:39], v[38:39], v[54:55]
	;; [unrolled: 1-line block ×8, first 2 shown]
	ds_write_b128 v192, v[0:3]
	ds_write_b128 v192, v[8:11] offset:272
	ds_write_b128 v192, v[12:15] offset:544
	;; [unrolled: 1-line block ×12, first 2 shown]
	s_waitcnt lgkmcnt(0)
	; wave barrier
	s_waitcnt lgkmcnt(0)
	ds_read_b128 v[16:19], v255
	ds_read_b128 v[12:15], v255 offset:816
	ds_read_b128 v[56:59], v255 offset:3536
	;; [unrolled: 1-line block ×11, first 2 shown]
	s_and_saveexec_b64 s[8:9], s[2:3]
	s_cbranch_execz .LBB0_19
; %bb.18:
	ds_read_b128 v[4:7], v255 offset:3264
	ds_read_b128 v[160:163], v255 offset:6800
	;; [unrolled: 1-line block ×3, first 2 shown]
.LBB0_19:
	s_or_b64 exec, exec, s[8:9]
	buffer_load_dword v64, off, s[64:67], 0 offset:112 ; 4-byte Folded Reload
	buffer_load_dword v65, off, s[64:67], 0 offset:116 ; 4-byte Folded Reload
	;; [unrolled: 1-line block ×4, first 2 shown]
	s_waitcnt lgkmcnt(9)
	v_mul_f64 v[48:49], v[70:71], v[58:59]
	v_mul_f64 v[50:51], v[70:71], v[56:57]
	s_waitcnt lgkmcnt(8)
	v_mul_f64 v[60:61], v[82:83], v[42:43]
	v_mul_f64 v[62:63], v[82:83], v[40:41]
	s_mov_b32 s8, 0xe8584caa
	s_mov_b32 s9, 0xbfebb67a
	;; [unrolled: 1-line block ×4, first 2 shown]
	v_fma_f64 v[48:49], v[68:69], v[56:57], v[48:49]
	s_waitcnt lgkmcnt(3)
	v_mul_f64 v[56:57], v[90:91], v[38:39]
	v_fma_f64 v[50:51], v[68:69], v[58:59], -v[50:51]
	s_waitcnt lgkmcnt(1)
	v_mul_f64 v[58:59], v[78:79], v[30:31]
	v_fma_f64 v[40:41], v[80:81], v[40:41], v[60:61]
	v_fma_f64 v[42:43], v[80:81], v[42:43], -v[62:63]
	s_waitcnt lgkmcnt(0)
	v_mul_f64 v[62:63], v[86:87], v[20:21]
	v_fma_f64 v[58:59], v[76:77], v[28:29], v[58:59]
	v_fma_f64 v[62:63], v[84:85], v[22:23], -v[62:63]
	s_waitcnt vmcnt(0)
	v_mul_f64 v[52:53], v[66:67], v[46:47]
	v_mul_f64 v[54:55], v[66:67], v[44:45]
	;; [unrolled: 1-line block ×3, first 2 shown]
	v_fma_f64 v[44:45], v[64:65], v[44:45], v[52:53]
	v_mul_f64 v[52:53], v[74:75], v[32:33]
	v_fma_f64 v[46:47], v[64:65], v[46:47], -v[54:55]
	v_mul_f64 v[54:55], v[90:91], v[36:37]
	v_fma_f64 v[32:33], v[72:73], v[32:33], v[66:67]
	v_add_f64 v[60:61], v[48:49], v[44:45]
	v_fma_f64 v[34:35], v[72:73], v[34:35], -v[52:53]
	v_fma_f64 v[52:53], v[88:89], v[36:37], v[56:57]
	v_mul_f64 v[36:37], v[78:79], v[28:29]
	v_fma_f64 v[38:39], v[88:89], v[38:39], -v[54:55]
	v_mul_f64 v[54:55], v[94:95], v[26:27]
	v_mul_f64 v[28:29], v[86:87], v[22:23]
	;; [unrolled: 1-line block ×3, first 2 shown]
	v_add_f64 v[22:23], v[50:51], v[46:47]
	v_fma_f64 v[64:65], v[76:77], v[30:31], -v[36:37]
	v_add_f64 v[30:31], v[16:17], v[48:49]
	v_fma_f64 v[54:55], v[92:93], v[24:25], v[54:55]
	v_fma_f64 v[24:25], v[60:61], -0.5, v[16:17]
	v_fma_f64 v[60:61], v[84:85], v[20:21], v[28:29]
	v_add_f64 v[28:29], v[18:19], v[50:51]
	v_fma_f64 v[56:57], v[92:93], v[26:27], -v[56:57]
	v_add_f64 v[26:27], v[50:51], -v[46:47]
	v_fma_f64 v[36:37], v[22:23], -0.5, v[18:19]
	v_add_f64 v[16:17], v[30:31], v[44:45]
	v_add_f64 v[30:31], v[40:41], v[32:33]
	v_add_f64 v[44:45], v[48:49], -v[44:45]
	v_add_f64 v[48:49], v[42:43], -v[34:35]
	v_add_f64 v[18:19], v[28:29], v[46:47]
	v_add_f64 v[28:29], v[42:43], v[34:35]
	;; [unrolled: 1-line block ×4, first 2 shown]
	v_fma_f64 v[20:21], v[26:27], s[8:9], v[24:25]
	v_fma_f64 v[30:31], v[30:31], -0.5, v[12:13]
	v_fma_f64 v[24:25], v[26:27], s[10:11], v[24:25]
	v_fma_f64 v[22:23], v[44:45], s[10:11], v[36:37]
	;; [unrolled: 1-line block ×3, first 2 shown]
	v_add_f64 v[36:37], v[14:15], v[42:43]
	v_fma_f64 v[42:43], v[28:29], -0.5, v[14:15]
	v_add_f64 v[40:41], v[40:41], -v[32:33]
	v_add_f64 v[44:45], v[8:9], v[52:53]
	v_add_f64 v[12:13], v[46:47], v[32:33]
	v_fma_f64 v[28:29], v[48:49], s[8:9], v[30:31]
	v_fma_f64 v[46:47], v[50:51], -0.5, v[8:9]
	v_add_f64 v[50:51], v[38:39], -v[64:65]
	v_fma_f64 v[32:33], v[48:49], s[10:11], v[30:31]
	v_add_f64 v[48:49], v[38:39], v[64:65]
	v_add_f64 v[14:15], v[36:37], v[34:35]
	v_fma_f64 v[30:31], v[40:41], s[10:11], v[42:43]
	v_fma_f64 v[34:35], v[40:41], s[8:9], v[42:43]
	v_add_f64 v[8:9], v[44:45], v[58:59]
	v_add_f64 v[42:43], v[54:55], v[60:61]
	;; [unrolled: 1-line block ×4, first 2 shown]
	v_fma_f64 v[36:37], v[50:51], s[8:9], v[46:47]
	v_fma_f64 v[40:41], v[50:51], s[10:11], v[46:47]
	v_fma_f64 v[46:47], v[48:49], -0.5, v[10:11]
	v_add_f64 v[48:49], v[52:53], -v[58:59]
	v_add_f64 v[50:51], v[0:1], v[54:55]
	v_fma_f64 v[52:53], v[42:43], -0.5, v[0:1]
	v_add_f64 v[58:59], v[56:57], -v[62:63]
	v_add_f64 v[56:57], v[2:3], v[56:57]
	;; [unrolled: 3-line block ×3, first 2 shown]
	v_fma_f64 v[38:39], v[48:49], s[10:11], v[46:47]
	v_fma_f64 v[42:43], v[48:49], s[8:9], v[46:47]
	v_add_f64 v[0:1], v[50:51], v[60:61]
	v_fma_f64 v[44:45], v[58:59], s[8:9], v[52:53]
	v_fma_f64 v[48:49], v[58:59], s[10:11], v[52:53]
	v_add_f64 v[2:3], v[56:57], v[62:63]
	v_fma_f64 v[46:47], v[54:55], s[10:11], v[66:67]
	v_fma_f64 v[50:51], v[54:55], s[8:9], v[66:67]
	ds_write_b128 v255, v[16:19]
	ds_write_b128 v255, v[20:23] offset:3536
	ds_write_b128 v255, v[24:27] offset:7072
	;; [unrolled: 1-line block ×11, first 2 shown]
	s_and_saveexec_b64 s[16:17], s[2:3]
	s_cbranch_execz .LBB0_21
; %bb.20:
	buffer_load_dword v16, off, s[64:67], 0 offset:160 ; 4-byte Folded Reload
	buffer_load_dword v17, off, s[64:67], 0 offset:164 ; 4-byte Folded Reload
	;; [unrolled: 1-line block ×8, first 2 shown]
	s_waitcnt vmcnt(4)
	v_mul_f64 v[0:1], v[18:19], v[160:161]
	s_waitcnt vmcnt(0)
	v_mul_f64 v[2:3], v[14:15], v[156:157]
	v_mul_f64 v[8:9], v[18:19], v[162:163]
	;; [unrolled: 1-line block ×3, first 2 shown]
	v_fma_f64 v[0:1], v[16:17], v[162:163], -v[0:1]
	v_fma_f64 v[2:3], v[12:13], v[158:159], -v[2:3]
	v_fma_f64 v[8:9], v[16:17], v[160:161], v[8:9]
	v_fma_f64 v[10:11], v[12:13], v[156:157], v[10:11]
	v_add_f64 v[18:19], v[6:7], v[0:1]
	v_add_f64 v[12:13], v[0:1], v[2:3]
	v_add_f64 v[20:21], v[0:1], -v[2:3]
	v_add_f64 v[14:15], v[8:9], v[10:11]
	v_add_f64 v[16:17], v[8:9], -v[10:11]
	v_add_f64 v[8:9], v[4:5], v[8:9]
	v_add_f64 v[2:3], v[18:19], v[2:3]
	v_fma_f64 v[12:13], v[12:13], -0.5, v[6:7]
	v_fma_f64 v[4:5], v[14:15], -0.5, v[4:5]
	v_add_f64 v[0:1], v[8:9], v[10:11]
	v_fma_f64 v[10:11], v[16:17], s[10:11], v[12:13]
	v_fma_f64 v[6:7], v[16:17], s[8:9], v[12:13]
	;; [unrolled: 1-line block ×4, first 2 shown]
	ds_write_b128 v255, v[0:3] offset:3264
	ds_write_b128 v255, v[8:11] offset:6800
	;; [unrolled: 1-line block ×3, first 2 shown]
.LBB0_21:
	s_or_b64 exec, exec, s[16:17]
	s_waitcnt lgkmcnt(0)
	; wave barrier
	s_waitcnt lgkmcnt(0)
	s_and_b64 exec, exec, s[0:1]
	s_cbranch_execz .LBB0_23
; %bb.22:
	global_load_dwordx4 v[0:3], v255, s[12:13]
	ds_read_b128 v[4:7], v255
	v_mad_u64_u32 v[12:13], s[0:1], s6, v197, 0
	v_mad_u64_u32 v[14:15], s[0:1], s4, v198, 0
	ds_read_b128 v[8:11], v255 offset:624
	ds_read_b128 v[16:19], v255 offset:9984
	s_mul_i32 s3, s5, 0x270
	v_mad_u64_u32 v[22:23], s[0:1], s7, v197, v[13:14]
	s_mul_i32 s2, s4, 0x270
	s_waitcnt lgkmcnt(0)
	v_mad_u64_u32 v[23:24], s[0:1], s5, v198, v[15:16]
	s_mov_b32 s0, 0x18b64019
	s_mov_b32 s1, 0x3f58b640
	v_mov_b32_e32 v13, v22
	v_mov_b32_e32 v15, v23
	s_mul_hi_u32 s5, s4, 0x270
	s_add_i32 s3, s5, s3
	s_movk_i32 s4, 0x1000
	s_waitcnt vmcnt(0)
	v_mul_f64 v[20:21], v[6:7], v[2:3]
	v_mul_f64 v[2:3], v[4:5], v[2:3]
	v_fma_f64 v[4:5], v[4:5], v[0:1], v[20:21]
	v_fma_f64 v[2:3], v[0:1], v[6:7], -v[2:3]
	v_lshlrev_b64 v[6:7], 4, v[12:13]
	v_mov_b32_e32 v20, s15
	v_lshlrev_b64 v[12:13], 4, v[14:15]
	v_mul_f64 v[0:1], v[4:5], s[0:1]
	v_mul_f64 v[2:3], v[2:3], s[0:1]
	v_add_co_u32_e32 v4, vcc, s14, v6
	v_addc_co_u32_e32 v5, vcc, v20, v7, vcc
	v_add_co_u32_e32 v4, vcc, v4, v12
	v_addc_co_u32_e32 v5, vcc, v5, v13, vcc
	global_store_dwordx4 v[4:5], v[0:3], off
	global_load_dwordx4 v[0:3], v255, s[12:13] offset:624
	v_add_co_u32_e32 v12, vcc, s2, v4
	v_mov_b32_e32 v20, s13
	s_waitcnt vmcnt(0)
	v_mul_f64 v[6:7], v[10:11], v[2:3]
	v_mul_f64 v[2:3], v[8:9], v[2:3]
	v_fma_f64 v[6:7], v[8:9], v[0:1], v[6:7]
	v_fma_f64 v[2:3], v[0:1], v[10:11], -v[2:3]
	v_mul_f64 v[0:1], v[6:7], s[0:1]
	v_mul_f64 v[2:3], v[2:3], s[0:1]
	v_mov_b32_e32 v6, s3
	v_addc_co_u32_e32 v13, vcc, v5, v6, vcc
	global_store_dwordx4 v[12:13], v[0:3], off
	global_load_dwordx4 v[0:3], v255, s[12:13] offset:1248
	ds_read_b128 v[4:7], v255 offset:1248
	ds_read_b128 v[8:11], v255 offset:1872
	s_waitcnt vmcnt(0) lgkmcnt(1)
	v_mul_f64 v[14:15], v[6:7], v[2:3]
	v_mul_f64 v[2:3], v[4:5], v[2:3]
	v_fma_f64 v[4:5], v[4:5], v[0:1], v[14:15]
	v_fma_f64 v[2:3], v[0:1], v[6:7], -v[2:3]
	v_mul_f64 v[0:1], v[4:5], s[0:1]
	v_mul_f64 v[2:3], v[2:3], s[0:1]
	v_mov_b32_e32 v5, s3
	v_add_co_u32_e32 v4, vcc, s2, v12
	v_addc_co_u32_e32 v5, vcc, v13, v5, vcc
	v_add_co_u32_e32 v12, vcc, s2, v4
	global_store_dwordx4 v[4:5], v[0:3], off
	global_load_dwordx4 v[0:3], v255, s[12:13] offset:1872
	s_waitcnt vmcnt(0) lgkmcnt(0)
	v_mul_f64 v[6:7], v[10:11], v[2:3]
	v_mul_f64 v[2:3], v[8:9], v[2:3]
	v_fma_f64 v[6:7], v[8:9], v[0:1], v[6:7]
	v_fma_f64 v[2:3], v[0:1], v[10:11], -v[2:3]
	v_mul_f64 v[0:1], v[6:7], s[0:1]
	v_mul_f64 v[2:3], v[2:3], s[0:1]
	v_mov_b32_e32 v6, s3
	v_addc_co_u32_e32 v13, vcc, v5, v6, vcc
	global_store_dwordx4 v[12:13], v[0:3], off
	global_load_dwordx4 v[0:3], v255, s[12:13] offset:2496
	ds_read_b128 v[4:7], v255 offset:2496
	ds_read_b128 v[8:11], v255 offset:3120
	s_waitcnt vmcnt(0) lgkmcnt(1)
	v_mul_f64 v[14:15], v[6:7], v[2:3]
	v_mul_f64 v[2:3], v[4:5], v[2:3]
	v_fma_f64 v[4:5], v[4:5], v[0:1], v[14:15]
	v_fma_f64 v[2:3], v[0:1], v[6:7], -v[2:3]
	v_mul_f64 v[0:1], v[4:5], s[0:1]
	v_mul_f64 v[2:3], v[2:3], s[0:1]
	v_mov_b32_e32 v5, s3
	v_add_co_u32_e32 v4, vcc, s2, v12
	v_addc_co_u32_e32 v5, vcc, v13, v5, vcc
	v_add_co_u32_e32 v12, vcc, s2, v4
	global_store_dwordx4 v[4:5], v[0:3], off
	global_load_dwordx4 v[0:3], v255, s[12:13] offset:3120
	s_waitcnt vmcnt(0) lgkmcnt(0)
	v_mul_f64 v[6:7], v[10:11], v[2:3]
	v_mul_f64 v[2:3], v[8:9], v[2:3]
	v_fma_f64 v[6:7], v[8:9], v[0:1], v[6:7]
	v_fma_f64 v[2:3], v[0:1], v[10:11], -v[2:3]
	v_mul_f64 v[0:1], v[6:7], s[0:1]
	v_mul_f64 v[2:3], v[2:3], s[0:1]
	v_mov_b32_e32 v6, s3
	v_addc_co_u32_e32 v13, vcc, v5, v6, vcc
	v_add_co_u32_e32 v22, vcc, s12, v255
	v_addc_co_u32_e32 v23, vcc, 0, v20, vcc
	global_store_dwordx4 v[12:13], v[0:3], off
	global_load_dwordx4 v[0:3], v255, s[12:13] offset:3744
	ds_read_b128 v[4:7], v255 offset:3744
	ds_read_b128 v[8:11], v255 offset:4368
	s_waitcnt vmcnt(0) lgkmcnt(1)
	v_mul_f64 v[14:15], v[6:7], v[2:3]
	v_mul_f64 v[2:3], v[4:5], v[2:3]
	v_fma_f64 v[4:5], v[4:5], v[0:1], v[14:15]
	v_fma_f64 v[2:3], v[0:1], v[6:7], -v[2:3]
	v_add_co_u32_e32 v14, vcc, s4, v22
	v_addc_co_u32_e32 v15, vcc, 0, v23, vcc
	v_mov_b32_e32 v6, s3
	s_movk_i32 s4, 0x2000
	v_mul_f64 v[0:1], v[4:5], s[0:1]
	v_mul_f64 v[2:3], v[2:3], s[0:1]
	v_add_co_u32_e32 v4, vcc, s2, v12
	v_addc_co_u32_e32 v5, vcc, v13, v6, vcc
	v_add_co_u32_e32 v12, vcc, s2, v4
	global_store_dwordx4 v[4:5], v[0:3], off
	global_load_dwordx4 v[0:3], v[14:15], off offset:272
	s_waitcnt vmcnt(0) lgkmcnt(0)
	v_mul_f64 v[6:7], v[10:11], v[2:3]
	v_mul_f64 v[2:3], v[8:9], v[2:3]
	v_fma_f64 v[6:7], v[8:9], v[0:1], v[6:7]
	v_fma_f64 v[2:3], v[0:1], v[10:11], -v[2:3]
	v_mul_f64 v[0:1], v[6:7], s[0:1]
	v_mul_f64 v[2:3], v[2:3], s[0:1]
	v_mov_b32_e32 v6, s3
	v_addc_co_u32_e32 v13, vcc, v5, v6, vcc
	global_store_dwordx4 v[12:13], v[0:3], off
	global_load_dwordx4 v[0:3], v[14:15], off offset:896
	ds_read_b128 v[4:7], v255 offset:4992
	ds_read_b128 v[8:11], v255 offset:5616
	s_waitcnt vmcnt(0) lgkmcnt(1)
	v_mul_f64 v[20:21], v[6:7], v[2:3]
	v_mul_f64 v[2:3], v[4:5], v[2:3]
	v_fma_f64 v[4:5], v[4:5], v[0:1], v[20:21]
	v_fma_f64 v[2:3], v[0:1], v[6:7], -v[2:3]
	v_mul_f64 v[0:1], v[4:5], s[0:1]
	v_mul_f64 v[2:3], v[2:3], s[0:1]
	v_mov_b32_e32 v5, s3
	v_add_co_u32_e32 v4, vcc, s2, v12
	v_addc_co_u32_e32 v5, vcc, v13, v5, vcc
	v_add_co_u32_e32 v12, vcc, s2, v4
	global_store_dwordx4 v[4:5], v[0:3], off
	global_load_dwordx4 v[0:3], v[14:15], off offset:1520
	s_waitcnt vmcnt(0) lgkmcnt(0)
	v_mul_f64 v[6:7], v[10:11], v[2:3]
	v_mul_f64 v[2:3], v[8:9], v[2:3]
	v_fma_f64 v[6:7], v[8:9], v[0:1], v[6:7]
	v_fma_f64 v[2:3], v[0:1], v[10:11], -v[2:3]
	v_mul_f64 v[0:1], v[6:7], s[0:1]
	v_mul_f64 v[2:3], v[2:3], s[0:1]
	v_mov_b32_e32 v6, s3
	v_addc_co_u32_e32 v13, vcc, v5, v6, vcc
	global_store_dwordx4 v[12:13], v[0:3], off
	global_load_dwordx4 v[0:3], v[14:15], off offset:2144
	ds_read_b128 v[4:7], v255 offset:6240
	ds_read_b128 v[8:11], v255 offset:6864
	s_waitcnt vmcnt(0) lgkmcnt(1)
	v_mul_f64 v[20:21], v[6:7], v[2:3]
	v_mul_f64 v[2:3], v[4:5], v[2:3]
	v_fma_f64 v[4:5], v[4:5], v[0:1], v[20:21]
	v_fma_f64 v[2:3], v[0:1], v[6:7], -v[2:3]
	v_mul_f64 v[0:1], v[4:5], s[0:1]
	v_mul_f64 v[2:3], v[2:3], s[0:1]
	v_mov_b32_e32 v5, s3
	;; [unrolled: 26-line block ×3, first 2 shown]
	v_add_co_u32_e32 v4, vcc, s2, v12
	v_addc_co_u32_e32 v5, vcc, v13, v5, vcc
	v_add_co_u32_e32 v12, vcc, s4, v22
	global_store_dwordx4 v[4:5], v[0:3], off
	global_load_dwordx4 v[0:3], v[14:15], off offset:4016
	v_addc_co_u32_e32 v13, vcc, 0, v23, vcc
	v_add_co_u32_e32 v14, vcc, s2, v4
	s_waitcnt vmcnt(0) lgkmcnt(0)
	v_mul_f64 v[6:7], v[10:11], v[2:3]
	v_mul_f64 v[2:3], v[8:9], v[2:3]
	v_fma_f64 v[6:7], v[8:9], v[0:1], v[6:7]
	v_fma_f64 v[2:3], v[0:1], v[10:11], -v[2:3]
	v_mov_b32_e32 v8, s3
	v_addc_co_u32_e32 v15, vcc, v5, v8, vcc
	v_mul_f64 v[0:1], v[6:7], s[0:1]
	v_mul_f64 v[2:3], v[2:3], s[0:1]
	global_store_dwordx4 v[14:15], v[0:3], off
	global_load_dwordx4 v[0:3], v[12:13], off offset:544
	ds_read_b128 v[4:7], v255 offset:8736
	ds_read_b128 v[8:11], v255 offset:9360
	s_waitcnt vmcnt(0) lgkmcnt(1)
	v_mul_f64 v[20:21], v[6:7], v[2:3]
	v_mul_f64 v[2:3], v[4:5], v[2:3]
	v_fma_f64 v[4:5], v[4:5], v[0:1], v[20:21]
	v_fma_f64 v[2:3], v[0:1], v[6:7], -v[2:3]
	v_mul_f64 v[0:1], v[4:5], s[0:1]
	v_mul_f64 v[2:3], v[2:3], s[0:1]
	v_mov_b32_e32 v5, s3
	v_add_co_u32_e32 v4, vcc, s2, v14
	v_addc_co_u32_e32 v5, vcc, v15, v5, vcc
	global_store_dwordx4 v[4:5], v[0:3], off
	global_load_dwordx4 v[0:3], v[12:13], off offset:1168
	v_add_co_u32_e32 v4, vcc, s2, v4
	s_waitcnt vmcnt(0) lgkmcnt(0)
	v_mul_f64 v[6:7], v[10:11], v[2:3]
	v_mul_f64 v[2:3], v[8:9], v[2:3]
	v_fma_f64 v[6:7], v[8:9], v[0:1], v[6:7]
	v_fma_f64 v[2:3], v[0:1], v[10:11], -v[2:3]
	v_mul_f64 v[0:1], v[6:7], s[0:1]
	v_mul_f64 v[2:3], v[2:3], s[0:1]
	v_mov_b32_e32 v6, s3
	v_addc_co_u32_e32 v5, vcc, v5, v6, vcc
	global_store_dwordx4 v[4:5], v[0:3], off
	global_load_dwordx4 v[0:3], v[12:13], off offset:1792
	v_add_co_u32_e32 v4, vcc, s2, v4
	s_waitcnt vmcnt(0)
	v_mul_f64 v[6:7], v[18:19], v[2:3]
	v_mul_f64 v[2:3], v[16:17], v[2:3]
	v_fma_f64 v[6:7], v[16:17], v[0:1], v[6:7]
	v_fma_f64 v[2:3], v[0:1], v[18:19], -v[2:3]
	v_mul_f64 v[0:1], v[6:7], s[0:1]
	v_mul_f64 v[2:3], v[2:3], s[0:1]
	v_mov_b32_e32 v6, s3
	v_addc_co_u32_e32 v5, vcc, v5, v6, vcc
	global_store_dwordx4 v[4:5], v[0:3], off
.LBB0_23:
	s_endpgm
	.section	.rodata,"a",@progbits
	.p2align	6, 0x0
	.amdhsa_kernel bluestein_single_back_len663_dim1_dp_op_CI_CI
		.amdhsa_group_segment_fixed_size 10608
		.amdhsa_private_segment_fixed_size 492
		.amdhsa_kernarg_size 104
		.amdhsa_user_sgpr_count 6
		.amdhsa_user_sgpr_private_segment_buffer 1
		.amdhsa_user_sgpr_dispatch_ptr 0
		.amdhsa_user_sgpr_queue_ptr 0
		.amdhsa_user_sgpr_kernarg_segment_ptr 1
		.amdhsa_user_sgpr_dispatch_id 0
		.amdhsa_user_sgpr_flat_scratch_init 0
		.amdhsa_user_sgpr_private_segment_size 0
		.amdhsa_uses_dynamic_stack 0
		.amdhsa_system_sgpr_private_segment_wavefront_offset 1
		.amdhsa_system_sgpr_workgroup_id_x 1
		.amdhsa_system_sgpr_workgroup_id_y 0
		.amdhsa_system_sgpr_workgroup_id_z 0
		.amdhsa_system_sgpr_workgroup_info 0
		.amdhsa_system_vgpr_workitem_id 0
		.amdhsa_next_free_vgpr 256
		.amdhsa_next_free_sgpr 68
		.amdhsa_reserve_vcc 1
		.amdhsa_reserve_flat_scratch 0
		.amdhsa_float_round_mode_32 0
		.amdhsa_float_round_mode_16_64 0
		.amdhsa_float_denorm_mode_32 3
		.amdhsa_float_denorm_mode_16_64 3
		.amdhsa_dx10_clamp 1
		.amdhsa_ieee_mode 1
		.amdhsa_fp16_overflow 0
		.amdhsa_exception_fp_ieee_invalid_op 0
		.amdhsa_exception_fp_denorm_src 0
		.amdhsa_exception_fp_ieee_div_zero 0
		.amdhsa_exception_fp_ieee_overflow 0
		.amdhsa_exception_fp_ieee_underflow 0
		.amdhsa_exception_fp_ieee_inexact 0
		.amdhsa_exception_int_div_zero 0
	.end_amdhsa_kernel
	.text
.Lfunc_end0:
	.size	bluestein_single_back_len663_dim1_dp_op_CI_CI, .Lfunc_end0-bluestein_single_back_len663_dim1_dp_op_CI_CI
                                        ; -- End function
	.section	.AMDGPU.csdata,"",@progbits
; Kernel info:
; codeLenInByte = 32656
; NumSgprs: 72
; NumVgprs: 256
; ScratchSize: 492
; MemoryBound: 0
; FloatMode: 240
; IeeeMode: 1
; LDSByteSize: 10608 bytes/workgroup (compile time only)
; SGPRBlocks: 8
; VGPRBlocks: 63
; NumSGPRsForWavesPerEU: 72
; NumVGPRsForWavesPerEU: 256
; Occupancy: 1
; WaveLimiterHint : 1
; COMPUTE_PGM_RSRC2:SCRATCH_EN: 1
; COMPUTE_PGM_RSRC2:USER_SGPR: 6
; COMPUTE_PGM_RSRC2:TRAP_HANDLER: 0
; COMPUTE_PGM_RSRC2:TGID_X_EN: 1
; COMPUTE_PGM_RSRC2:TGID_Y_EN: 0
; COMPUTE_PGM_RSRC2:TGID_Z_EN: 0
; COMPUTE_PGM_RSRC2:TIDIG_COMP_CNT: 0
	.type	__hip_cuid_c6e2aaf46ec89c4,@object ; @__hip_cuid_c6e2aaf46ec89c4
	.section	.bss,"aw",@nobits
	.globl	__hip_cuid_c6e2aaf46ec89c4
__hip_cuid_c6e2aaf46ec89c4:
	.byte	0                               ; 0x0
	.size	__hip_cuid_c6e2aaf46ec89c4, 1

	.ident	"AMD clang version 19.0.0git (https://github.com/RadeonOpenCompute/llvm-project roc-6.4.0 25133 c7fe45cf4b819c5991fe208aaa96edf142730f1d)"
	.section	".note.GNU-stack","",@progbits
	.addrsig
	.addrsig_sym __hip_cuid_c6e2aaf46ec89c4
	.amdgpu_metadata
---
amdhsa.kernels:
  - .args:
      - .actual_access:  read_only
        .address_space:  global
        .offset:         0
        .size:           8
        .value_kind:     global_buffer
      - .actual_access:  read_only
        .address_space:  global
        .offset:         8
        .size:           8
        .value_kind:     global_buffer
      - .actual_access:  read_only
        .address_space:  global
        .offset:         16
        .size:           8
        .value_kind:     global_buffer
      - .actual_access:  read_only
        .address_space:  global
        .offset:         24
        .size:           8
        .value_kind:     global_buffer
      - .actual_access:  read_only
        .address_space:  global
        .offset:         32
        .size:           8
        .value_kind:     global_buffer
      - .offset:         40
        .size:           8
        .value_kind:     by_value
      - .address_space:  global
        .offset:         48
        .size:           8
        .value_kind:     global_buffer
      - .address_space:  global
        .offset:         56
        .size:           8
        .value_kind:     global_buffer
      - .address_space:  global
        .offset:         64
        .size:           8
        .value_kind:     global_buffer
      - .address_space:  global
        .offset:         72
        .size:           8
        .value_kind:     global_buffer
      - .offset:         80
        .size:           4
        .value_kind:     by_value
      - .address_space:  global
        .offset:         88
        .size:           8
        .value_kind:     global_buffer
      - .address_space:  global
        .offset:         96
        .size:           8
        .value_kind:     global_buffer
    .group_segment_fixed_size: 10608
    .kernarg_segment_align: 8
    .kernarg_segment_size: 104
    .language:       OpenCL C
    .language_version:
      - 2
      - 0
    .max_flat_workgroup_size: 51
    .name:           bluestein_single_back_len663_dim1_dp_op_CI_CI
    .private_segment_fixed_size: 492
    .sgpr_count:     72
    .sgpr_spill_count: 0
    .symbol:         bluestein_single_back_len663_dim1_dp_op_CI_CI.kd
    .uniform_work_group_size: 1
    .uses_dynamic_stack: false
    .vgpr_count:     256
    .vgpr_spill_count: 193
    .wavefront_size: 64
amdhsa.target:   amdgcn-amd-amdhsa--gfx906
amdhsa.version:
  - 1
  - 2
...

	.end_amdgpu_metadata
